;; amdgpu-corpus repo=ROCm/rocFFT kind=compiled arch=gfx1030 opt=O3
	.text
	.amdgcn_target "amdgcn-amd-amdhsa--gfx1030"
	.amdhsa_code_object_version 6
	.protected	bluestein_single_back_len1365_dim1_half_op_CI_CI ; -- Begin function bluestein_single_back_len1365_dim1_half_op_CI_CI
	.globl	bluestein_single_back_len1365_dim1_half_op_CI_CI
	.p2align	8
	.type	bluestein_single_back_len1365_dim1_half_op_CI_CI,@function
bluestein_single_back_len1365_dim1_half_op_CI_CI: ; @bluestein_single_back_len1365_dim1_half_op_CI_CI
; %bb.0:
	s_load_dwordx4 s[12:15], s[4:5], 0x28
	v_mul_u32_u24_e32 v1, 0x2d1, v0
	v_mov_b32_e32 v27, 0
	s_mov_b32 s0, exec_lo
	v_lshrrev_b32_e32 v2, 16, v1
	v_lshl_add_u32 v26, s6, 1, v2
	s_waitcnt lgkmcnt(0)
	v_cmpx_gt_u64_e64 s[12:13], v[26:27]
	s_cbranch_execz .LBB0_23
; %bb.1:
	s_clause 0x1
	s_load_dwordx4 s[8:11], s[4:5], 0x18
	s_load_dwordx2 s[6:7], s[4:5], 0x0
	v_mul_lo_u16 v1, 0x5b, v2
	v_sub_nc_u16 v8, v0, v1
	v_and_b32_e32 v84, 0xffff, v8
	v_lshlrev_b32_e32 v9, 2, v84
	s_waitcnt lgkmcnt(0)
	s_load_dwordx4 s[0:3], s[8:9], 0x0
	s_clause 0x4
	global_load_dword v87, v9, s[6:7]
	global_load_dword v86, v9, s[6:7] offset:420
	global_load_dword v85, v9, s[6:7] offset:840
	;; [unrolled: 1-line block ×4, first 2 shown]
	s_waitcnt lgkmcnt(0)
	v_mad_u64_u32 v[0:1], null, s2, v26, 0
	v_mad_u64_u32 v[3:4], null, s0, v84, 0
	v_add_co_u32 v24, s2, s6, v9
	s_mul_hi_u32 s8, s0, 0x69
	v_add_co_ci_u32_e64 v25, null, s7, 0, s2
	v_mad_u64_u32 v[5:6], null, s3, v26, v[1:2]
	s_mul_i32 s3, s1, 0x69
	s_mul_i32 s2, s0, 0x69
	s_add_i32 s3, s8, s3
	v_and_b32_e32 v2, 1, v2
	s_lshl_b64 s[2:3], s[2:3], 2
	s_load_dwordx2 s[6:7], s[4:5], 0x38
	v_mad_u64_u32 v[6:7], null, s1, v84, v[4:5]
	v_mov_b32_e32 v1, v5
	v_lshlrev_b64 v[0:1], 2, v[0:1]
	v_mov_b32_e32 v4, v6
	v_add_co_u32 v0, vcc_lo, s14, v0
	v_lshlrev_b64 v[3:4], 2, v[3:4]
	v_add_co_ci_u32_e32 v1, vcc_lo, s15, v1, vcc_lo
	v_add_co_u32 v0, vcc_lo, v0, v3
	v_add_co_ci_u32_e32 v1, vcc_lo, v1, v4, vcc_lo
	global_load_dword v5, v[0:1], off
	v_add_co_u32 v0, vcc_lo, v0, s2
	v_add_co_ci_u32_e32 v1, vcc_lo, s3, v1, vcc_lo
	v_add_co_u32 v22, vcc_lo, 0x800, v24
	v_add_co_ci_u32_e32 v23, vcc_lo, 0, v25, vcc_lo
	global_load_dword v6, v[0:1], off
	v_add_co_u32 v0, vcc_lo, v0, s2
	v_add_co_ci_u32_e32 v1, vcc_lo, s3, v1, vcc_lo
	global_load_dword v81, v[22:23], off offset:52
	v_add_co_u32 v3, vcc_lo, v0, s2
	v_add_co_ci_u32_e32 v4, vcc_lo, s3, v1, vcc_lo
	s_clause 0x1
	global_load_dword v7, v[0:1], off
	global_load_dword v10, v[3:4], off
	v_add_co_u32 v0, vcc_lo, v3, s2
	v_add_co_ci_u32_e32 v1, vcc_lo, s3, v4, vcc_lo
	v_add_co_u32 v3, vcc_lo, v0, s2
	v_add_co_ci_u32_e32 v4, vcc_lo, s3, v1, vcc_lo
	global_load_dword v11, v[0:1], off
	v_add_co_u32 v0, vcc_lo, v3, s2
	v_add_co_ci_u32_e32 v1, vcc_lo, s3, v4, vcc_lo
	global_load_dword v12, v[3:4], off
	v_add_co_u32 v3, vcc_lo, v0, s2
	v_add_co_ci_u32_e32 v4, vcc_lo, s3, v1, vcc_lo
	v_add_co_u32 v20, vcc_lo, 0x1000, v24
	global_load_dword v80, v[22:23], off offset:472
	global_load_dword v13, v[0:1], off
	global_load_dword v14, v[3:4], off
	v_add_co_ci_u32_e32 v21, vcc_lo, 0, v25, vcc_lo
	v_add_co_u32 v0, vcc_lo, v3, s2
	v_add_co_ci_u32_e32 v1, vcc_lo, s3, v4, vcc_lo
	s_clause 0x2
	global_load_dword v79, v[22:23], off offset:892
	global_load_dword v78, v[22:23], off offset:1312
	;; [unrolled: 1-line block ×3, first 2 shown]
	v_add_co_u32 v3, vcc_lo, v0, s2
	v_add_co_ci_u32_e32 v4, vcc_lo, s3, v1, vcc_lo
	global_load_dword v15, v[0:1], off
	v_add_co_u32 v0, vcc_lo, v3, s2
	v_add_co_ci_u32_e32 v1, vcc_lo, s3, v4, vcc_lo
	global_load_dword v16, v[3:4], off
	;; [unrolled: 3-line block ×3, first 2 shown]
	v_add_co_u32 v0, vcc_lo, v3, s2
	v_add_co_ci_u32_e32 v1, vcc_lo, s3, v4, vcc_lo
	global_load_dword v76, v[20:21], off offset:104
	global_load_dword v18, v[3:4], off
	global_load_dword v19, v[0:1], off
	s_clause 0x1
	global_load_dword v75, v[20:21], off offset:524
	global_load_dword v74, v[20:21], off offset:944
	v_cmp_eq_u32_e32 vcc_lo, 1, v2
	s_load_dwordx4 s[8:11], s[10:11], 0x0
	v_cndmask_b32_e64 v2, 0, 0x555, vcc_lo
	v_cmp_gt_u16_e32 vcc_lo, 14, v8
	v_lshlrev_b32_e32 v88, 2, v2
	v_add_nc_u32_e32 v73, v88, v9
	v_add_nc_u32_e32 v2, 0x200, v73
	;; [unrolled: 1-line block ×4, first 2 shown]
	s_waitcnt vmcnt(20)
	v_lshrrev_b32_e32 v9, 16, v5
	v_mul_f16_sdwa v27, v87, v5 dst_sel:DWORD dst_unused:UNUSED_PAD src0_sel:WORD_1 src1_sel:DWORD
	v_mul_f16_sdwa v28, v87, v9 dst_sel:DWORD dst_unused:UNUSED_PAD src0_sel:WORD_1 src1_sel:DWORD
	v_fma_f16 v9, v87, v9, -v27
	s_waitcnt vmcnt(19)
	v_lshrrev_b32_e32 v29, 16, v6
	v_mul_f16_sdwa v30, v86, v6 dst_sel:DWORD dst_unused:UNUSED_PAD src0_sel:WORD_1 src1_sel:DWORD
	v_fmac_f16_e32 v28, v87, v5
	v_mul_f16_sdwa v5, v86, v29 dst_sel:DWORD dst_unused:UNUSED_PAD src0_sel:WORD_1 src1_sel:DWORD
	v_fma_f16 v29, v86, v29, -v30
	v_pack_b32_f16 v9, v28, v9
	s_waitcnt vmcnt(17)
	v_lshrrev_b32_e32 v27, 16, v7
	v_mul_f16_sdwa v30, v85, v7 dst_sel:DWORD dst_unused:UNUSED_PAD src0_sel:WORD_1 src1_sel:DWORD
	v_fmac_f16_e32 v5, v86, v6
	s_waitcnt vmcnt(16)
	v_lshrrev_b32_e32 v28, 16, v10
	v_mul_f16_sdwa v31, v83, v10 dst_sel:DWORD dst_unused:UNUSED_PAD src0_sel:WORD_1 src1_sel:DWORD
	v_mul_f16_sdwa v6, v85, v27 dst_sel:DWORD dst_unused:UNUSED_PAD src0_sel:WORD_1 src1_sel:DWORD
	v_fma_f16 v27, v85, v27, -v30
	v_pack_b32_f16 v5, v5, v29
	v_fmac_f16_e32 v6, v85, v7
	v_mul_f16_sdwa v7, v83, v28 dst_sel:DWORD dst_unused:UNUSED_PAD src0_sel:WORD_1 src1_sel:DWORD
	v_fma_f16 v28, v83, v28, -v31
	s_waitcnt vmcnt(15)
	v_lshrrev_b32_e32 v29, 16, v11
	v_mul_f16_sdwa v30, v82, v11 dst_sel:DWORD dst_unused:UNUSED_PAD src0_sel:WORD_1 src1_sel:DWORD
	ds_write2_b32 v73, v9, v5 offset1:105
	v_pack_b32_f16 v5, v6, v27
	v_fmac_f16_e32 v7, v83, v10
	v_mul_f16_sdwa v6, v82, v29 dst_sel:DWORD dst_unused:UNUSED_PAD src0_sel:WORD_1 src1_sel:DWORD
	s_waitcnt vmcnt(14)
	v_lshrrev_b32_e32 v9, 16, v12
	v_mul_f16_sdwa v10, v81, v12 dst_sel:DWORD dst_unused:UNUSED_PAD src0_sel:WORD_1 src1_sel:DWORD
	v_fma_f16 v27, v82, v29, -v30
	v_pack_b32_f16 v7, v7, v28
	v_fmac_f16_e32 v6, v82, v11
	v_mul_f16_sdwa v11, v81, v9 dst_sel:DWORD dst_unused:UNUSED_PAD src0_sel:WORD_1 src1_sel:DWORD
	v_fma_f16 v9, v81, v9, -v10
	s_waitcnt vmcnt(12)
	v_lshrrev_b32_e32 v10, 16, v13
	v_mul_f16_sdwa v28, v80, v13 dst_sel:DWORD dst_unused:UNUSED_PAD src0_sel:WORD_1 src1_sel:DWORD
	ds_write2_b32 v2, v5, v7 offset0:82 offset1:187
	v_pack_b32_f16 v5, v6, v27
	v_fmac_f16_e32 v11, v81, v12
	v_mul_f16_sdwa v6, v80, v10 dst_sel:DWORD dst_unused:UNUSED_PAD src0_sel:WORD_1 src1_sel:DWORD
	s_waitcnt vmcnt(11)
	v_lshrrev_b32_e32 v7, 16, v14
	s_waitcnt vmcnt(10)
	v_mul_f16_sdwa v12, v79, v14 dst_sel:DWORD dst_unused:UNUSED_PAD src0_sel:WORD_1 src1_sel:DWORD
	v_fma_f16 v10, v80, v10, -v28
	v_pack_b32_f16 v9, v11, v9
	v_fmac_f16_e32 v6, v80, v13
	v_mul_f16_sdwa v11, v79, v7 dst_sel:DWORD dst_unused:UNUSED_PAD src0_sel:WORD_1 src1_sel:DWORD
	v_fma_f16 v7, v79, v7, -v12
	s_waitcnt vmcnt(7)
	v_lshrrev_b32_e32 v12, 16, v15
	v_mul_f16_sdwa v13, v78, v15 dst_sel:DWORD dst_unused:UNUSED_PAD src0_sel:WORD_1 src1_sel:DWORD
	ds_write2_b32 v3, v5, v9 offset0:36 offset1:141
	v_pack_b32_f16 v9, v6, v10
	v_fmac_f16_e32 v11, v79, v14
	v_mul_f16_sdwa v5, v78, v12 dst_sel:DWORD dst_unused:UNUSED_PAD src0_sel:WORD_1 src1_sel:DWORD
	s_waitcnt vmcnt(6)
	v_lshrrev_b32_e32 v6, 16, v16
	v_fma_f16 v10, v78, v12, -v13
	v_mul_f16_sdwa v12, v77, v16 dst_sel:DWORD dst_unused:UNUSED_PAD src0_sel:WORD_1 src1_sel:DWORD
	v_pack_b32_f16 v7, v11, v7
	v_fmac_f16_e32 v5, v78, v15
	v_mul_f16_sdwa v11, v77, v6 dst_sel:DWORD dst_unused:UNUSED_PAD src0_sel:WORD_1 src1_sel:DWORD
	s_waitcnt vmcnt(5)
	v_lshrrev_b32_e32 v13, 16, v17
	v_fma_f16 v6, v77, v6, -v12
	s_waitcnt vmcnt(4)
	v_mul_f16_sdwa v12, v76, v17 dst_sel:DWORD dst_unused:UNUSED_PAD src0_sel:WORD_1 src1_sel:DWORD
	v_pack_b32_f16 v10, v5, v10
	v_fmac_f16_e32 v11, v77, v16
	s_waitcnt vmcnt(3)
	v_lshrrev_b32_e32 v5, 16, v18
	s_waitcnt vmcnt(2)
	v_lshrrev_b32_e32 v15, 16, v19
	v_mul_f16_sdwa v14, v76, v13 dst_sel:DWORD dst_unused:UNUSED_PAD src0_sel:WORD_1 src1_sel:DWORD
	v_fma_f16 v12, v76, v13, -v12
	s_waitcnt vmcnt(1)
	v_mul_f16_sdwa v13, v75, v18 dst_sel:DWORD dst_unused:UNUSED_PAD src0_sel:WORD_1 src1_sel:DWORD
	v_pack_b32_f16 v11, v11, v6
	v_mul_f16_sdwa v6, v75, v5 dst_sel:DWORD dst_unused:UNUSED_PAD src0_sel:WORD_1 src1_sel:DWORD
	s_waitcnt vmcnt(0)
	v_mul_f16_sdwa v16, v74, v15 dst_sel:DWORD dst_unused:UNUSED_PAD src0_sel:WORD_1 src1_sel:DWORD
	v_mul_f16_sdwa v27, v74, v19 dst_sel:DWORD dst_unused:UNUSED_PAD src0_sel:WORD_1 src1_sel:DWORD
	v_fma_f16 v13, v75, v5, -v13
	v_fmac_f16_e32 v14, v76, v17
	v_fmac_f16_e32 v6, v75, v18
	;; [unrolled: 1-line block ×3, first 2 shown]
	v_fma_f16 v15, v74, v15, -v27
	v_add_nc_u32_e32 v5, 0xc00, v73
	v_pack_b32_f16 v12, v14, v12
	v_pack_b32_f16 v13, v6, v13
	v_add_nc_u32_e32 v6, 0x1000, v73
	v_pack_b32_f16 v14, v16, v15
	ds_write2_b32 v4, v9, v7 offset0:118 offset1:223
	ds_write2_b32 v5, v10, v11 offset0:72 offset1:177
	;; [unrolled: 1-line block ×3, first 2 shown]
	ds_write_b32 v73, v14 offset:5040
	s_and_saveexec_b32 s12, vcc_lo
	s_cbranch_execz .LBB0_3
; %bb.2:
	v_mad_u64_u32 v[0:1], null, 0xffffedbc, s0, v[0:1]
	s_mulk_i32 s1, 0xedbc
	v_add_nc_u32_e32 v39, 0x400, v73
	s_sub_i32 s0, s1, s0
	v_add_nc_u32_e32 v43, 0xa00, v73
	v_add_nc_u32_e32 v1, s0, v1
	v_add_co_u32 v7, s0, v0, s2
	v_add_co_ci_u32_e64 v8, s0, s3, v1, s0
	global_load_dword v9, v[0:1], off
	global_load_dword v10, v[7:8], off
	v_add_co_u32 v0, s0, v7, s2
	v_add_co_ci_u32_e64 v1, s0, s3, v8, s0
	s_clause 0x4
	global_load_dword v11, v[24:25], off offset:364
	global_load_dword v12, v[24:25], off offset:784
	;; [unrolled: 1-line block ×5, first 2 shown]
	v_add_co_u32 v7, s0, v0, s2
	v_add_co_ci_u32_e64 v8, s0, s3, v1, s0
	global_load_dword v16, v[0:1], off
	v_add_co_u32 v0, s0, v7, s2
	v_add_co_ci_u32_e64 v1, s0, s3, v8, s0
	global_load_dword v17, v[7:8], off
	;; [unrolled: 3-line block ×3, first 2 shown]
	v_add_co_u32 v0, s0, v7, s2
	v_add_co_ci_u32_e64 v1, s0, s3, v8, s0
	global_load_dword v19, v[22:23], off offset:416
	global_load_dword v27, v[7:8], off
	global_load_dword v28, v[0:1], off
	v_add_co_u32 v0, s0, v0, s2
	v_add_co_ci_u32_e64 v1, s0, s3, v1, s0
	s_clause 0x3
	global_load_dword v29, v[22:23], off offset:836
	global_load_dword v30, v[22:23], off offset:1256
	;; [unrolled: 1-line block ×4, first 2 shown]
	v_add_co_u32 v7, s0, v0, s2
	v_add_co_ci_u32_e64 v8, s0, s3, v1, s0
	global_load_dword v33, v[0:1], off
	v_add_co_u32 v0, s0, v7, s2
	v_add_co_ci_u32_e64 v1, s0, s3, v8, s0
	global_load_dword v34, v[7:8], off
	;; [unrolled: 3-line block ×4, first 2 shown]
	v_add_co_u32 v7, s0, v0, s2
	v_add_co_ci_u32_e64 v8, s0, s3, v1, s0
	global_load_dword v37, v[20:21], off offset:468
	global_load_dword v0, v[0:1], off
	global_load_dword v1, v[7:8], off
	s_clause 0x1
	global_load_dword v7, v[20:21], off offset:888
	global_load_dword v8, v[20:21], off offset:1308
	s_waitcnt vmcnt(25)
	v_lshrrev_b32_e32 v38, 16, v9
	s_waitcnt vmcnt(24)
	v_lshrrev_b32_e32 v42, 16, v10
	s_waitcnt vmcnt(23)
	v_mul_f16_sdwa v40, v11, v9 dst_sel:DWORD dst_unused:UNUSED_PAD src0_sel:WORD_1 src1_sel:DWORD
	s_waitcnt vmcnt(22)
	v_mul_f16_sdwa v44, v12, v10 dst_sel:DWORD dst_unused:UNUSED_PAD src0_sel:WORD_1 src1_sel:DWORD
	v_mul_f16_sdwa v41, v11, v38 dst_sel:DWORD dst_unused:UNUSED_PAD src0_sel:WORD_1 src1_sel:DWORD
	v_fma_f16 v38, v11, v38, -v40
	v_fma_f16 v40, v12, v42, -v44
	v_fmac_f16_e32 v41, v11, v9
	v_mul_f16_sdwa v9, v12, v42 dst_sel:DWORD dst_unused:UNUSED_PAD src0_sel:WORD_1 src1_sel:DWORD
	s_waitcnt vmcnt(18)
	v_lshrrev_b32_e32 v11, 16, v16
	v_mul_f16_sdwa v42, v13, v16 dst_sel:DWORD dst_unused:UNUSED_PAD src0_sel:WORD_1 src1_sel:DWORD
	v_pack_b32_f16 v38, v41, v38
	v_fmac_f16_e32 v9, v12, v10
	v_mul_f16_sdwa v10, v13, v11 dst_sel:DWORD dst_unused:UNUSED_PAD src0_sel:WORD_1 src1_sel:DWORD
	s_waitcnt vmcnt(17)
	v_lshrrev_b32_e32 v12, 16, v17
	v_mul_f16_sdwa v41, v14, v17 dst_sel:DWORD dst_unused:UNUSED_PAD src0_sel:WORD_1 src1_sel:DWORD
	v_fma_f16 v11, v13, v11, -v42
	v_pack_b32_f16 v9, v9, v40
	v_fmac_f16_e32 v10, v13, v16
	v_mul_f16_sdwa v13, v14, v12 dst_sel:DWORD dst_unused:UNUSED_PAD src0_sel:WORD_1 src1_sel:DWORD
	s_waitcnt vmcnt(16)
	v_lshrrev_b32_e32 v16, 16, v18
	v_fma_f16 v12, v14, v12, -v41
	v_mul_f16_sdwa v40, v15, v18 dst_sel:DWORD dst_unused:UNUSED_PAD src0_sel:WORD_1 src1_sel:DWORD
	ds_write2_b32 v73, v38, v9 offset0:91 offset1:196
	v_pack_b32_f16 v9, v10, v11
	v_fmac_f16_e32 v13, v14, v17
	v_mul_f16_sdwa v10, v15, v16 dst_sel:DWORD dst_unused:UNUSED_PAD src0_sel:WORD_1 src1_sel:DWORD
	s_waitcnt vmcnt(14)
	v_lshrrev_b32_e32 v11, 16, v27
	v_mul_f16_sdwa v14, v19, v27 dst_sel:DWORD dst_unused:UNUSED_PAD src0_sel:WORD_1 src1_sel:DWORD
	v_fma_f16 v16, v15, v16, -v40
	v_pack_b32_f16 v12, v13, v12
	v_fmac_f16_e32 v10, v15, v18
	v_mul_f16_sdwa v13, v19, v11 dst_sel:DWORD dst_unused:UNUSED_PAD src0_sel:WORD_1 src1_sel:DWORD
	v_fma_f16 v11, v19, v11, -v14
	s_waitcnt vmcnt(13)
	v_lshrrev_b32_e32 v14, 16, v28
	s_waitcnt vmcnt(12)
	v_mul_f16_sdwa v15, v29, v28 dst_sel:DWORD dst_unused:UNUSED_PAD src0_sel:WORD_1 src1_sel:DWORD
	ds_write2_b32 v39, v9, v12 offset0:45 offset1:150
	v_pack_b32_f16 v9, v10, v16
	v_fmac_f16_e32 v13, v19, v27
	v_mul_f16_sdwa v10, v29, v14 dst_sel:DWORD dst_unused:UNUSED_PAD src0_sel:WORD_1 src1_sel:DWORD
	s_waitcnt vmcnt(8)
	v_lshrrev_b32_e32 v12, 16, v33
	v_fma_f16 v14, v29, v14, -v15
	v_mul_f16_sdwa v15, v30, v33 dst_sel:DWORD dst_unused:UNUSED_PAD src0_sel:WORD_1 src1_sel:DWORD
	s_waitcnt vmcnt(7)
	v_lshrrev_b32_e32 v16, 16, v34
	v_fmac_f16_e32 v10, v29, v28
	v_pack_b32_f16 v11, v13, v11
	v_mul_f16_sdwa v13, v30, v12 dst_sel:DWORD dst_unused:UNUSED_PAD src0_sel:WORD_1 src1_sel:DWORD
	v_fma_f16 v12, v30, v12, -v15
	v_mul_f16_sdwa v15, v31, v34 dst_sel:DWORD dst_unused:UNUSED_PAD src0_sel:WORD_1 src1_sel:DWORD
	v_pack_b32_f16 v10, v10, v14
	v_mul_f16_sdwa v14, v31, v16 dst_sel:DWORD dst_unused:UNUSED_PAD src0_sel:WORD_1 src1_sel:DWORD
	v_fmac_f16_e32 v13, v30, v33
	s_waitcnt vmcnt(6)
	v_lshrrev_b32_e32 v17, 16, v35
	v_mul_f16_sdwa v18, v32, v35 dst_sel:DWORD dst_unused:UNUSED_PAD src0_sel:WORD_1 src1_sel:DWORD
	v_fma_f16 v15, v31, v16, -v15
	v_fmac_f16_e32 v14, v31, v34
	v_pack_b32_f16 v12, v13, v12
	v_mul_f16_sdwa v13, v32, v17 dst_sel:DWORD dst_unused:UNUSED_PAD src0_sel:WORD_1 src1_sel:DWORD
	v_fma_f16 v16, v32, v17, -v18
	s_waitcnt vmcnt(5)
	v_lshrrev_b32_e32 v17, 16, v36
	s_waitcnt vmcnt(4)
	v_mul_f16_sdwa v18, v37, v36 dst_sel:DWORD dst_unused:UNUSED_PAD src0_sel:WORD_1 src1_sel:DWORD
	v_pack_b32_f16 v14, v14, v15
	s_waitcnt vmcnt(3)
	v_lshrrev_b32_e32 v15, 16, v0
	s_waitcnt vmcnt(2)
	v_lshrrev_b32_e32 v19, 16, v1
	v_mul_f16_sdwa v27, v37, v17 dst_sel:DWORD dst_unused:UNUSED_PAD src0_sel:WORD_1 src1_sel:DWORD
	v_fma_f16 v17, v37, v17, -v18
	s_waitcnt vmcnt(1)
	v_mul_f16_sdwa v18, v7, v0 dst_sel:DWORD dst_unused:UNUSED_PAD src0_sel:WORD_1 src1_sel:DWORD
	v_mul_f16_sdwa v28, v7, v15 dst_sel:DWORD dst_unused:UNUSED_PAD src0_sel:WORD_1 src1_sel:DWORD
	s_waitcnt vmcnt(0)
	v_mul_f16_sdwa v29, v8, v19 dst_sel:DWORD dst_unused:UNUSED_PAD src0_sel:WORD_1 src1_sel:DWORD
	v_mul_f16_sdwa v30, v8, v1 dst_sel:DWORD dst_unused:UNUSED_PAD src0_sel:WORD_1 src1_sel:DWORD
	v_fmac_f16_e32 v13, v32, v35
	v_fmac_f16_e32 v27, v37, v36
	v_fma_f16 v15, v7, v15, -v18
	v_fmac_f16_e32 v28, v7, v0
	v_fmac_f16_e32 v29, v8, v1
	v_fma_f16 v0, v8, v19, -v30
	v_pack_b32_f16 v1, v13, v16
	v_add_nc_u32_e32 v7, 0xe00, v73
	v_pack_b32_f16 v8, v27, v17
	v_pack_b32_f16 v13, v28, v15
	;; [unrolled: 1-line block ×3, first 2 shown]
	ds_write2_b32 v3, v9, v11 offset0:127 offset1:232
	ds_write2_b32 v43, v10, v12 offset0:81 offset1:186
	;; [unrolled: 1-line block ×4, first 2 shown]
	ds_write_b32 v73, v0 offset:5404
.LBB0_3:
	s_or_b32 exec_lo, exec_lo, s12
	s_waitcnt lgkmcnt(0)
	s_barrier
	buffer_gl0_inv
	ds_read2_b32 v[18:19], v73 offset1:105
	ds_read2_b32 v[31:32], v2 offset0:82 offset1:187
	ds_read2_b32 v[35:36], v3 offset0:36 offset1:141
	;; [unrolled: 1-line block ×5, first 2 shown]
	ds_read_b32 v45, v73 offset:5040
	v_mov_b32_e32 v0, 0
                                        ; implicit-def: $vgpr7
                                        ; implicit-def: $vgpr4
                                        ; implicit-def: $vgpr9
                                        ; implicit-def: $vgpr2
                                        ; implicit-def: $vgpr11
                                        ; implicit-def: $vgpr39
	s_and_saveexec_b32 s0, vcc_lo
	s_cbranch_execz .LBB0_5
; %bb.4:
	v_add_nc_u32_e32 v2, 0x400, v73
	v_add_nc_u32_e32 v3, 0x600, v73
	;; [unrolled: 1-line block ×5, first 2 shown]
	ds_read2_b32 v[0:1], v73 offset0:91 offset1:196
	ds_read2_b32 v[10:11], v2 offset0:45 offset1:150
	;; [unrolled: 1-line block ×6, first 2 shown]
	ds_read_b32 v39, v73 offset:5404
.LBB0_5:
	s_or_b32 exec_lo, exec_lo, s0
	s_waitcnt lgkmcnt(0)
	v_pk_add_f16 v51, v1, v39 neg_lo:[0,1] neg_hi:[0,1]
	v_mov_b32_e32 v90, 0xb770
	v_mov_b32_e32 v42, 0xba95
	v_pk_add_f16 v48, v39, v1
	v_pk_add_f16 v53, v10, v3 neg_lo:[0,1] neg_hi:[0,1]
	v_mov_b32_e32 v40, 0xbb7b
	v_mul_f16_sdwa v57, v51, v90 dst_sel:DWORD dst_unused:UNUSED_PAD src0_sel:WORD_1 src1_sel:DWORD
	v_mul_f16_sdwa v12, v51, v42 dst_sel:DWORD dst_unused:UNUSED_PAD src0_sel:WORD_1 src1_sel:DWORD
	v_pk_add_f16 v49, v3, v10
	v_mul_f16_sdwa v56, v53, v42 dst_sel:DWORD dst_unused:UNUSED_PAD src0_sel:WORD_1 src1_sel:DWORD
	v_mov_b32_e32 v44, 0xbbf1
	v_fma_f16 v13, v48, 0x3b15, -v57
	v_pk_add_f16 v55, v11, v2 neg_lo:[0,1] neg_hi:[0,1]
	v_mul_f16_sdwa v16, v53, v40 dst_sel:DWORD dst_unused:UNUSED_PAD src0_sel:WORD_1 src1_sel:DWORD
	v_fma_f16 v17, v48, 0x388b, -v12
	v_fma_f16 v27, v49, 0x388b, -v56
	v_mov_b32_e32 v43, 0xb3a8
	v_pk_add_f16 v59, v8, v5 neg_lo:[0,1] neg_hi:[0,1]
	v_pk_add_f16 v54, v2, v11
	v_mul_f16_sdwa v62, v55, v44 dst_sel:DWORD dst_unused:UNUSED_PAD src0_sel:WORD_1 src1_sel:DWORD
	v_add_f16_e32 v13, v13, v0
	v_mov_b32_e32 v41, 0xb94e
	v_fma_f16 v28, v49, 0xb5ac, -v16
	v_mov_b32_e32 v47, 0x394e
	v_mul_f16_sdwa v29, v55, v43 dst_sel:DWORD dst_unused:UNUSED_PAD src0_sel:WORD_1 src1_sel:DWORD
	v_pk_add_f16 v52, v5, v8
	v_mul_f16_sdwa v61, v59, v40 dst_sel:DWORD dst_unused:UNUSED_PAD src0_sel:WORD_1 src1_sel:DWORD
	v_fma_f16 v30, v54, 0x2fb7, -v62
	v_add_f16_e32 v17, v17, v0
	v_add_f16_e32 v13, v27, v13
	v_pk_add_f16 v65, v9, v4 neg_lo:[0,1] neg_hi:[0,1]
	v_mov_b32_e32 v46, 0x3bf1
	v_fma_f16 v50, v54, 0xbbc4, -v29
	v_fma_f16 v58, v52, 0xb5ac, -v61
	v_mul_f16_sdwa v27, v59, v47 dst_sel:DWORD dst_unused:UNUSED_PAD src0_sel:WORD_1 src1_sel:DWORD
	v_add_f16_e32 v17, v28, v17
	v_pk_add_f16 v63, v4, v9
	v_add_f16_e32 v13, v30, v13
	v_mul_f16_sdwa v67, v65, v41 dst_sel:DWORD dst_unused:UNUSED_PAD src0_sel:WORD_1 src1_sel:DWORD
	v_fma_f16 v28, v52, 0xb9fd, -v27
	v_add_f16_e32 v17, v50, v17
	v_mul_f16_sdwa v30, v65, v46 dst_sel:DWORD dst_unused:UNUSED_PAD src0_sel:WORD_1 src1_sel:DWORD
	v_add_f16_e32 v13, v58, v13
	v_fma_f16 v50, v63, 0xb9fd, -v67
	v_fmac_f16_e32 v12, 0x388b, v48
	v_add_f16_e32 v17, v28, v17
	v_fma_f16 v28, v63, 0x2fb7, -v30
	v_fmac_f16_e32 v16, 0xb5ac, v49
	v_add_f16_e32 v13, v50, v13
	v_mul_f16_sdwa v50, v51, v44 dst_sel:DWORD dst_unused:UNUSED_PAD src0_sel:WORD_1 src1_sel:DWORD
	v_add_f16_e32 v12, v12, v0
	v_add_f16_e32 v17, v28, v17
	v_mul_f16_sdwa v28, v53, v43 dst_sel:DWORD dst_unused:UNUSED_PAD src0_sel:WORD_1 src1_sel:DWORD
	v_mov_b32_e32 v64, 0x3b7b
	v_fma_f16 v58, v48, 0x2fb7, -v50
	v_fmac_f16_e32 v50, 0x2fb7, v48
	v_pk_add_f16 v68, v6, v7 neg_lo:[0,1] neg_hi:[0,1]
	v_fma_f16 v60, v49, 0xbbc4, -v28
	v_fmac_f16_e32 v28, 0xbbc4, v49
	v_mul_f16_sdwa v69, v55, v64 dst_sel:DWORD dst_unused:UNUSED_PAD src0_sel:WORD_1 src1_sel:DWORD
	v_add_f16_e32 v66, v50, v0
	v_mov_b32_e32 v50, 0x3770
	v_add_f16_e32 v12, v16, v12
	v_fmac_f16_e32 v29, 0xbbc4, v54
	v_pk_add_f16 v71, v7, v6
	v_add_f16_e32 v16, v28, v66
	v_fma_f16 v66, v54, 0xb5ac, -v69
	v_fmac_f16_e32 v69, 0xb5ac, v54
	v_mul_f16_sdwa v89, v68, v43 dst_sel:DWORD dst_unused:UNUSED_PAD src0_sel:WORD_1 src1_sel:DWORD
	v_mul_f16_sdwa v28, v59, v50 dst_sel:DWORD dst_unused:UNUSED_PAD src0_sel:WORD_1 src1_sel:DWORD
	;; [unrolled: 1-line block ×3, first 2 shown]
	v_add_f16_e32 v12, v29, v12
	v_fmac_f16_e32 v27, 0xb9fd, v52
	v_add_f16_e32 v16, v69, v16
	v_fma_f16 v29, v52, 0x3b15, -v28
	v_fmac_f16_e32 v28, 0x3b15, v52
	v_fma_f16 v69, v71, 0xbbc4, -v89
	v_mul_f16_sdwa v72, v65, v42 dst_sel:DWORD dst_unused:UNUSED_PAD src0_sel:WORD_1 src1_sel:DWORD
	v_fma_f16 v91, v71, 0x3b15, -v70
	v_add_f16_e32 v27, v27, v12
	v_fmac_f16_e32 v30, 0x2fb7, v63
	v_mul_f16_sdwa v92, v51, v40 dst_sel:DWORD dst_unused:UNUSED_PAD src0_sel:WORD_1 src1_sel:DWORD
	v_add_f16_e32 v16, v28, v16
	v_fma_f16 v94, v63, 0x388b, -v72
	v_fmac_f16_e32 v72, 0x388b, v63
	v_add_f16_e32 v12, v69, v13
	v_add_f16_e32 v13, v91, v17
	;; [unrolled: 1-line block ×3, first 2 shown]
	v_fma_f16 v27, v48, 0xb5ac, -v92
	v_mul_f16_sdwa v30, v53, v47 dst_sel:DWORD dst_unused:UNUSED_PAD src0_sel:WORD_1 src1_sel:DWORD
	v_add_f16_e32 v28, v58, v0
	v_add_f16_e32 v16, v72, v16
	v_fmac_f16_e32 v70, 0x3b15, v71
	v_mul_f16_sdwa v69, v68, v41 dst_sel:DWORD dst_unused:UNUSED_PAD src0_sel:WORD_1 src1_sel:DWORD
	v_add_f16_e32 v27, v27, v0
	v_fma_f16 v58, v49, 0xb9fd, -v30
	v_mul_f16_sdwa v72, v55, v50 dst_sel:DWORD dst_unused:UNUSED_PAD src0_sel:WORD_1 src1_sel:DWORD
	v_add_f16_e32 v91, v60, v28
	v_fma_f16 v96, v71, 0xb9fd, -v69
	v_fmac_f16_e32 v69, 0xb9fd, v71
	v_add_f16_e32 v27, v58, v27
	v_fma_f16 v58, v54, 0x3b15, -v72
	v_mul_f16_sdwa v97, v59, v44 dst_sel:DWORD dst_unused:UNUSED_PAD src0_sel:WORD_1 src1_sel:DWORD
	v_add_f16_e32 v28, v70, v17
	v_add_f16_e32 v17, v66, v91
	v_fmac_f16_e32 v92, 0xb5ac, v48
	v_add_f16_e32 v58, v58, v27
	v_fma_f16 v66, v52, 0x2fb7, -v97
	v_add_f16_e32 v27, v69, v16
	v_add_f16_e32 v16, v29, v17
	v_mul_f16_sdwa v17, v51, v41 dst_sel:DWORD dst_unused:UNUSED_PAD src0_sel:WORD_1 src1_sel:DWORD
	v_add_f16_e32 v69, v92, v0
	v_add_f16_e32 v29, v66, v58
	v_mul_f16_sdwa v66, v53, v46 dst_sel:DWORD dst_unused:UNUSED_PAD src0_sel:WORD_1 src1_sel:DWORD
	v_fmac_f16_e32 v30, 0xb9fd, v49
	v_fma_f16 v93, v48, 0xb9fd, -v17
	v_fmac_f16_e32 v17, 0xb9fd, v48
	v_mov_b32_e32 v60, 0x33a8
	v_fma_f16 v92, v49, 0x2fb7, -v66
	v_fmac_f16_e32 v66, 0x2fb7, v49
	v_add_f16_e32 v30, v30, v69
	v_add_f16_e32 v17, v17, v0
	v_fmac_f16_e32 v72, 0x3b15, v54
	v_mul_f16_sdwa v70, v65, v60 dst_sel:DWORD dst_unused:UNUSED_PAD src0_sel:WORD_1 src1_sel:DWORD
	v_fmac_f16_e32 v97, 0x2fb7, v52
	v_mul_f16_sdwa v91, v55, v42 dst_sel:DWORD dst_unused:UNUSED_PAD src0_sel:WORD_1 src1_sel:DWORD
	v_add_f16_e32 v17, v66, v17
	v_pk_add_f16 v66, v18, v19
	v_add_f16_e32 v30, v72, v30
	v_fma_f16 v58, v63, 0xbbc4, -v70
	v_fmac_f16_e32 v70, 0xbbc4, v63
	v_add_f16_e32 v16, v94, v16
	v_pk_add_f16 v66, v66, v31
	v_add_f16_e32 v30, v97, v30
	v_add_f16_e32 v29, v58, v29
	v_fma_f16 v94, v54, 0x388b, -v91
	v_fmac_f16_e32 v91, 0x388b, v54
	v_pk_add_f16 v66, v66, v32
	v_mov_b32_e32 v58, 0x3a95
	v_mul_f16_sdwa v69, v59, v60 dst_sel:DWORD dst_unused:UNUSED_PAD src0_sel:WORD_1 src1_sel:DWORD
	v_add_f16_e32 v30, v70, v30
	v_add_f16_e32 v17, v91, v17
	v_pk_add_f16 v66, v66, v35
	v_mul_f16_sdwa v72, v68, v58 dst_sel:DWORD dst_unused:UNUSED_PAD src0_sel:WORD_1 src1_sel:DWORD
	v_fma_f16 v95, v52, 0xbbc4, -v69
	v_fmac_f16_e32 v69, 0xbbc4, v52
	v_mul_f16_sdwa v98, v65, v50 dst_sel:DWORD dst_unused:UNUSED_PAD src0_sel:WORD_1 src1_sel:DWORD
	v_pk_add_f16 v66, v66, v36
	v_mul_f16_sdwa v97, v68, v40 dst_sel:DWORD dst_unused:UNUSED_PAD src0_sel:WORD_1 src1_sel:DWORD
	v_add_f16_e32 v16, v96, v16
	v_add_f16_e32 v17, v69, v17
	v_fma_f16 v91, v63, 0x3b15, -v98
	v_pk_add_f16 v70, v66, v14
	v_fmac_f16_e32 v98, 0x3b15, v63
	v_fma_f16 v69, v71, 0x388b, -v72
	v_fmac_f16_e32 v72, 0x388b, v71
	v_fma_f16 v66, v71, 0xb5ac, -v97
	v_pk_add_f16 v70, v70, v15
	v_add_f16_e32 v98, v98, v17
	v_fmac_f16_e32 v97, 0xb5ac, v71
	v_add_f16_e32 v17, v69, v29
	v_add_f16_e32 v30, v72, v30
	v_pk_add_f16 v96, v70, v37
	v_pk_add_f16 v72, v38, v35
	v_pk_add_f16 v70, v35, v38 neg_lo:[0,1] neg_hi:[0,1]
	v_pk_add_f16 v69, v37, v36
	v_pk_add_f16 v35, v36, v37 neg_lo:[0,1] neg_hi:[0,1]
	v_pk_add_f16 v37, v96, v38
	v_add_f16_e32 v29, v97, v98
	v_pk_add_f16 v96, v45, v19
	v_pk_add_f16 v19, v19, v45 neg_lo:[0,1] neg_hi:[0,1]
	v_pk_add_f16 v38, v34, v31
	v_pk_add_f16 v97, v37, v33
	v_pk_add_f16 v36, v31, v34 neg_lo:[0,1] neg_hi:[0,1]
	v_lshrrev_b32_e32 v98, 16, v96
	v_mul_f16_e32 v99, 0xba95, v19
	v_pk_add_f16 v37, v33, v32
	v_pk_add_f16 v31, v32, v33 neg_lo:[0,1] neg_hi:[0,1]
	v_mul_f16_e32 v32, 0xbbf1, v19
	v_pk_add_f16 v34, v97, v34
	v_mul_f16_e32 v97, 0xbb7b, v19
	v_mul_f16_e32 v101, 0xb94e, v19
	v_mul_f16_sdwa v90, v19, v90 dst_sel:DWORD dst_unused:UNUSED_PAD src0_sel:WORD_1 src1_sel:DWORD
	v_pk_mul_f16 v106, 0x3b15388b, v96
	v_fmamk_f16 v33, v98, 0x388b, v99
	v_fma_f16 v99, v98, 0x388b, -v99
	v_fmamk_f16 v100, v98, 0x2fb7, v32
	v_fma_f16 v32, v98, 0x2fb7, -v32
	;; [unrolled: 2-line block ×4, first 2 shown]
	v_mul_f16_sdwa v101, v19, v44 dst_sel:DWORD dst_unused:UNUSED_PAD src0_sel:WORD_1 src1_sel:DWORD
	v_fma_f16 v104, v96, 0x3b15, -v90
	v_mul_f16_sdwa v105, v19, v40 dst_sel:DWORD dst_unused:UNUSED_PAD src0_sel:WORD_1 src1_sel:DWORD
	v_fmac_f16_e32 v90, 0x3b15, v96
	v_mul_f16_sdwa v109, v19, v41 dst_sel:DWORD dst_unused:UNUSED_PAD src0_sel:WORD_1 src1_sel:DWORD
	v_pk_fma_f16 v110, 0xba95b770, v19, v106 op_sel:[0,0,1] op_sel_hi:[1,1,0] neg_lo:[0,1,0] neg_hi:[0,1,0]
	v_pk_fma_f16 v106, 0xba95b770, v19, v106 op_sel:[0,0,1] op_sel_hi:[1,1,0]
	v_pk_mul_f16 v111, 0xbbc4, v96 op_sel_hi:[0,1]
	v_fma_f16 v107, v96, 0x2fb7, -v101
	v_fmac_f16_e32 v101, 0x2fb7, v96
	v_fma_f16 v108, v96, 0xb5ac, -v105
	v_fmac_f16_e32 v105, 0xb5ac, v96
	;; [unrolled: 2-line block ×3, first 2 shown]
	v_bfi_b32 v96, 0xffff, v106, v110
	v_pk_fma_f16 v113, 0xb3a8, v19, v111 op_sel:[0,0,1] op_sel_hi:[0,1,0] neg_lo:[0,1,0] neg_hi:[0,1,0]
	v_pk_fma_f16 v19, 0xb3a8, v19, v111 op_sel:[0,0,1] op_sel_hi:[0,1,0]
	v_add_f16_e32 v111, v18, v90
	v_add_f16_sdwa v114, v18, v33 dst_sel:DWORD dst_unused:UNUSED_PAD src0_sel:WORD_1 src1_sel:DWORD
	v_lshrrev_b32_e32 v90, 16, v48
	v_mul_f16_e32 v116, 0xb770, v51
	v_add_f16_sdwa v33, v18, v110 dst_sel:DWORD dst_unused:UNUSED_PAD src0_sel:WORD_1 src1_sel:DWORD
	v_mul_f16_e32 v110, 0xba95, v51
	v_add_f16_e32 v104, v18, v104
	v_pk_add_f16 v96, v18, v96 op_sel:[1,0] op_sel_hi:[0,1]
	v_pk_add_f16 v106, v18, v106 op_sel:[1,0] op_sel_hi:[0,1]
	v_add_f16_sdwa v99, v18, v99 dst_sel:DWORD dst_unused:UNUSED_PAD src0_sel:WORD_1 src1_sel:DWORD
	v_add_f16_e32 v107, v18, v107
	v_add_f16_sdwa v100, v18, v100 dst_sel:DWORD dst_unused:UNUSED_PAD src0_sel:WORD_1 src1_sel:DWORD
	v_add_f16_e32 v101, v18, v101
	;; [unrolled: 2-line block ×6, first 2 shown]
	v_add_f16_sdwa v98, v18, v98 dst_sel:DWORD dst_unused:UNUSED_PAD src0_sel:WORD_1 src1_sel:DWORD
	v_pk_add_f16 v32, v18, v113 op_sel:[1,0] op_sel_hi:[0,1]
	v_pk_add_f16 v18, v18, v19 op_sel:[1,0] op_sel_hi:[0,1]
	v_fmamk_f16 v19, v90, 0x3b15, v116
	v_mul_f16_e32 v113, 0xbbf1, v51
	v_fma_f16 v116, v90, 0x3b15, -v116
	v_fmamk_f16 v117, v90, 0x388b, v110
	v_mul_f16_e32 v118, 0xbb7b, v51
	v_mul_f16_e32 v120, 0xb94e, v51
	v_lshrrev_b32_e32 v122, 16, v49
	v_mul_f16_e32 v123, 0xba95, v53
	v_mul_f16_e32 v125, 0xbb7b, v53
	v_fmac_f16_e32 v57, 0x3b15, v48
	v_fma_f16 v110, v90, 0x388b, -v110
	v_fmamk_f16 v119, v90, 0x2fb7, v113
	v_fma_f16 v113, v90, 0x2fb7, -v113
	v_fmamk_f16 v121, v90, 0xb5ac, v118
	;; [unrolled: 2-line block ×4, first 2 shown]
	v_mul_f16_e32 v126, 0xb3a8, v53
	v_fma_f16 v123, v122, 0x388b, -v123
	v_fmamk_f16 v127, v122, 0xb5ac, v125
	v_mul_f16_e32 v128, 0x394e, v53
	v_add_f16_sdwa v19, v19, v0 dst_sel:DWORD dst_unused:UNUSED_PAD src0_sel:DWORD src1_sel:WORD_1
	v_fmac_f16_e32 v56, 0x388b, v49
	v_add_f16_e32 v57, v57, v0
	v_add_f16_sdwa v116, v116, v0 dst_sel:DWORD dst_unused:UNUSED_PAD src0_sel:DWORD src1_sel:WORD_1
	v_add_f16_sdwa v117, v117, v0 dst_sel:DWORD dst_unused:UNUSED_PAD src0_sel:DWORD src1_sel:WORD_1
	v_pk_mul_f16 v51, 0xb3a8, v51 op_sel_hi:[0,1]
	v_fma_f16 v125, v122, 0xb5ac, -v125
	v_fmamk_f16 v129, v122, 0xbbc4, v126
	v_mul_f16_e32 v130, 0x3bf1, v53
	v_fmamk_f16 v131, v122, 0xb9fd, v128
	v_lshrrev_b32_e32 v132, 16, v54
	v_mul_f16_e32 v133, 0xbbf1, v55
	v_fma_f16 v128, v122, 0xb9fd, -v128
	v_mul_f16_e32 v135, 0xb3a8, v55
	v_mul_f16_e32 v136, 0x3b7b, v55
	;; [unrolled: 1-line block ×3, first 2 shown]
	v_add_f16_sdwa v110, v110, v0 dst_sel:DWORD dst_unused:UNUSED_PAD src0_sel:DWORD src1_sel:WORD_1
	v_add_f16_e32 v19, v120, v19
	v_add_f16_e32 v56, v56, v57
	;; [unrolled: 1-line block ×4, first 2 shown]
	v_add_f16_sdwa v117, v119, v0 dst_sel:DWORD dst_unused:UNUSED_PAD src0_sel:DWORD src1_sel:WORD_1
	v_add_f16_sdwa v119, v121, v0 dst_sel:DWORD dst_unused:UNUSED_PAD src0_sel:DWORD src1_sel:WORD_1
	;; [unrolled: 1-line block ×3, first 2 shown]
	v_pk_fma_f16 v120, 0xbbc4, v48, v51 op_sel:[0,0,1] op_sel_hi:[0,1,0] neg_lo:[0,0,1] neg_hi:[0,0,1]
	v_pk_mul_f16 v53, 0x3770, v53 op_sel_hi:[0,1]
	v_fma_f16 v126, v122, 0xbbc4, -v126
	v_fmamk_f16 v134, v122, 0x2fb7, v130
	v_fma_f16 v122, v122, 0x2fb7, -v130
	v_fmamk_f16 v130, v132, 0x2fb7, v133
	v_fmamk_f16 v137, v132, 0xbbc4, v135
	v_fma_f16 v135, v132, 0xbbc4, -v135
	v_fmamk_f16 v139, v132, 0xb5ac, v136
	v_mul_f16_e32 v140, 0xba95, v55
	v_fmamk_f16 v141, v132, 0x3b15, v138
	v_lshrrev_b32_e32 v142, 16, v52
	v_mul_f16_e32 v143, 0xbb7b, v59
	v_fma_f16 v138, v132, 0x3b15, -v138
	v_mul_f16_e32 v145, 0x394e, v59
	v_mul_f16_e32 v146, 0x3770, v59
	;; [unrolled: 1-line block ×3, first 2 shown]
	v_add_f16_e32 v110, v125, v110
	v_add_f16_e32 v117, v129, v117
	;; [unrolled: 1-line block ×5, first 2 shown]
	v_pk_add_f16 v120, v120, v0
	v_pk_fma_f16 v123, 0x3b15, v49, v53 op_sel:[0,0,1] op_sel_hi:[0,1,0] neg_lo:[0,0,1] neg_hi:[0,0,1]
	v_fmac_f16_e32 v62, 0x2fb7, v54
	v_pk_mul_f16 v55, 0xb94e, v55 op_sel_hi:[0,1]
	v_pk_fma_f16 v48, 0xbbc4, v48, v51 op_sel:[0,0,1] op_sel_hi:[0,1,0]
	v_fma_f16 v133, v132, 0x2fb7, -v133
	v_fma_f16 v136, v132, 0xb5ac, -v136
	v_fmamk_f16 v144, v132, 0x388b, v140
	v_fma_f16 v132, v132, 0x388b, -v140
	v_fmamk_f16 v140, v142, 0xb5ac, v143
	v_fmamk_f16 v147, v142, 0xb9fd, v145
	v_fma_f16 v145, v142, 0xb9fd, -v145
	v_fmamk_f16 v149, v142, 0x3b15, v146
	v_mul_f16_e32 v150, 0x33a8, v59
	v_fmamk_f16 v151, v142, 0x2fb7, v148
	v_lshrrev_b32_e32 v152, 16, v63
	v_mul_f16_e32 v153, 0xb94e, v65
	v_fma_f16 v148, v142, 0x2fb7, -v148
	v_add_f16_e32 v92, v92, v93
	v_pk_add_f16 v120, v123, v120
	v_add_f16_e32 v19, v130, v19
	v_add_f16_e32 v56, v62, v56
	;; [unrolled: 1-line block ×7, first 2 shown]
	v_pk_fma_f16 v119, 0xb9fd, v54, v55 op_sel:[0,0,1] op_sel_hi:[0,1,0] neg_lo:[0,0,1] neg_hi:[0,0,1]
	v_fmac_f16_e32 v61, 0xb5ac, v52
	v_pk_mul_f16 v59, 0x3a95, v59 op_sel_hi:[0,1]
	v_pk_fma_f16 v49, 0x3b15, v49, v53 op_sel:[0,0,1] op_sel_hi:[0,1,0]
	v_pk_add_f16 v48, v48, v0
	v_fma_f16 v143, v142, 0xb5ac, -v143
	v_fma_f16 v146, v142, 0x3b15, -v146
	v_fmamk_f16 v154, v142, 0xbbc4, v150
	v_mul_f16_e32 v155, 0x3bf1, v65
	v_fma_f16 v142, v142, 0xbbc4, -v150
	v_fmamk_f16 v150, v152, 0xb9fd, v153
	v_mul_f16_e32 v156, 0xba95, v65
	v_mul_f16_e32 v158, 0x33a8, v65
	;; [unrolled: 1-line block ×3, first 2 shown]
	v_lshrrev_b32_e32 v162, 16, v71
	v_mul_f16_e32 v163, 0xb3a8, v68
	v_add_f16_sdwa v113, v113, v0 dst_sel:DWORD dst_unused:UNUSED_PAD src0_sel:DWORD src1_sel:WORD_1
	v_add_f16_e32 v92, v94, v92
	v_pk_add_f16 v94, v119, v120
	v_add_f16_e32 v19, v140, v19
	v_add_f16_e32 v56, v61, v56
	;; [unrolled: 1-line block ×7, first 2 shown]
	v_pk_fma_f16 v118, 0x388b, v52, v59 op_sel:[0,0,1] op_sel_hi:[0,1,0] neg_lo:[0,0,1] neg_hi:[0,0,1]
	v_pk_mul_f16 v53, 0xbb7b, v65 op_sel_hi:[0,1]
	v_pk_add_f16 v48, v49, v48
	v_pk_fma_f16 v51, 0xb9fd, v54, v55 op_sel:[0,0,1] op_sel_hi:[0,1,0]
	v_fma_f16 v153, v152, 0xb9fd, -v153
	v_fmamk_f16 v157, v152, 0x2fb7, v155
	v_fma_f16 v155, v152, 0x2fb7, -v155
	v_fmamk_f16 v159, v152, 0x388b, v156
	;; [unrolled: 2-line block ×5, first 2 shown]
	v_add_f16_e32 v113, v126, v113
	v_add_f16_sdwa v121, v124, v0 dst_sel:DWORD dst_unused:UNUSED_PAD src0_sel:DWORD src1_sel:WORD_1
	v_add_f16_e32 v57, v133, v57
	v_fmac_f16_e32 v67, 0xb9fd, v63
	v_pk_add_f16 v94, v118, v94
	v_add_f16_e32 v19, v150, v19
	v_pk_fma_f16 v49, 0xb5ac, v63, v53 op_sel:[0,0,1] op_sel_hi:[0,1,0] neg_lo:[0,0,1] neg_hi:[0,0,1]
	v_pk_add_f16 v48, v51, v48
	v_pk_fma_f16 v52, 0x388b, v52, v59 op_sel:[0,0,1] op_sel_hi:[0,1,0]
	v_add_f16_sdwa v90, v90, v0 dst_sel:DWORD dst_unused:UNUSED_PAD src0_sel:DWORD src1_sel:WORD_1
	v_add_f16_e32 v93, v134, v121
	v_add_f16_e32 v113, v136, v113
	;; [unrolled: 1-line block ×6, first 2 shown]
	v_pk_add_f16 v117, v49, v94
	v_add_f16_e32 v49, v160, v19
	v_pk_add_f16 v19, v52, v48
	v_pk_fma_f16 v48, 0xb5ac, v63, v53 op_sel:[0,0,1] op_sel_hi:[0,1,0]
	v_pk_mul_f16 v53, 0x3bf1, v68 op_sel_hi:[0,1]
	v_mul_f16_e32 v165, 0x3770, v68
	v_mul_f16_e32 v166, 0xb94e, v68
	v_fma_f16 v163, v162, 0xbbc4, -v163
	v_add_f16_e32 v90, v122, v90
	v_add_f16_e32 v93, v144, v93
	;; [unrolled: 1-line block ×5, first 2 shown]
	v_pk_add_f16 v19, v48, v19
	v_pk_fma_f16 v48, 0x2fb7, v71, v53 op_sel:[0,0,1] op_sel_hi:[0,1,0]
	v_pk_fma_f16 v53, 0x2fb7, v71, v53 op_sel:[0,0,1] op_sel_hi:[0,1,0] neg_lo:[0,0,1] neg_hi:[0,0,1]
	v_pk_mul_f16 v59, 0x388bb5ac, v38
	v_fmamk_f16 v167, v162, 0x3b15, v165
	v_fma_f16 v165, v162, 0x3b15, -v165
	v_fmamk_f16 v169, v162, 0xb9fd, v166
	v_mul_f16_e32 v170, 0xbb7b, v68
	v_add_f16_e32 v90, v132, v90
	v_add_f16_e32 v93, v154, v93
	;; [unrolled: 1-line block ×7, first 2 shown]
	v_pk_add_f16 v57, v48, v19
	v_pk_add_f16 v19, v53, v117
	v_pk_fma_f16 v53, 0xbb7bba95, v36, v59 op_sel:[0,0,1] op_sel_hi:[1,1,0] neg_lo:[0,1,0] neg_hi:[0,1,0]
	v_pk_fma_f16 v59, 0xbb7bba95, v36, v59 op_sel:[0,0,1] op_sel_hi:[1,1,0]
	v_fmamk_f16 v172, v162, 0xb5ac, v170
	v_add_f16_e32 v90, v142, v90
	v_add_f16_e32 v54, v164, v93
	v_fmac_f16_e32 v89, 0xbbc4, v71
	v_add_f16_e32 v51, v167, v61
	v_add_f16_e32 v92, v165, v62
	;; [unrolled: 1-line block ×3, first 2 shown]
	v_lshrrev_b32_e32 v61, 16, v38
	v_mul_f16_e32 v62, 0xbb7b, v36
	v_pk_add_f16 v34, v34, v45
	v_bfi_b32 v45, 0xffff, v59, v53
	v_mul_f16_e32 v67, 0xb3a8, v36
	v_add_f16_e32 v65, v161, v116
	v_add_f16_e32 v116, v152, v90
	;; [unrolled: 1-line block ×4, first 2 shown]
	v_mul_f16_sdwa v54, v36, v42 dst_sel:DWORD dst_unused:UNUSED_PAD src0_sel:WORD_1 src1_sel:DWORD
	v_fmamk_f16 v63, v61, 0xb5ac, v62
	v_pk_add_f16 v45, v45, v96
	v_fma_f16 v62, v61, 0xb5ac, -v62
	v_fmamk_f16 v71, v61, 0xbbc4, v67
	v_mul_f16_e32 v96, 0x394e, v36
	v_fma_f16 v48, v38, 0x388b, -v54
	v_mul_f16_e32 v168, 0x3a95, v68
	v_add_f16_e32 v62, v62, v99
	v_add_f16_e32 v71, v71, v100
	v_fmamk_f16 v99, v61, 0xb9fd, v96
	v_fma_f16 v96, v61, 0xb9fd, -v96
	v_mul_f16_e32 v100, 0x3bf1, v36
	v_add_f16_e32 v48, v48, v104
	v_mul_f16_sdwa v47, v36, v47 dst_sel:DWORD dst_unused:UNUSED_PAD src0_sel:WORD_1 src1_sel:DWORD
	v_pk_mul_f16 v104, 0x2fb7bbc4, v37
	v_add_f16_e32 v96, v96, v97
	v_fmamk_f16 v97, v61, 0x2fb7, v100
	v_fmamk_f16 v171, v162, 0x388b, v168
	v_fma_f16 v67, v61, 0xbbc4, -v67
	v_fma_f16 v89, v38, 0xb9fd, -v47
	v_fmac_f16_e32 v47, 0xb9fd, v38
	v_add_f16_e32 v99, v99, v102
	v_mul_f16_sdwa v102, v31, v44 dst_sel:DWORD dst_unused:UNUSED_PAD src0_sel:WORD_1 src1_sel:DWORD
	v_add_f16_e32 v97, v97, v103
	v_fma_f16 v61, v61, 0x2fb7, -v100
	v_pk_fma_f16 v103, 0xb3a8bbf1, v31, v104 op_sel:[0,0,1] op_sel_hi:[1,1,0] neg_lo:[0,1,0] neg_hi:[0,1,0]
	v_pk_fma_f16 v104, 0xb3a8bbf1, v31, v104 op_sel:[0,0,1] op_sel_hi:[1,1,0]
	v_add_f16_e32 v55, v171, v65
	v_fmac_f16_e32 v54, 0x388b, v38
	v_mul_f16_sdwa v65, v36, v43 dst_sel:DWORD dst_unused:UNUSED_PAD src0_sel:WORD_1 src1_sel:DWORD
	v_pk_add_f16 v59, v59, v106
	v_add_f16_e32 v47, v47, v105
	v_fma_f16 v100, v37, 0x2fb7, -v102
	v_lshrrev_b32_e32 v105, 16, v37
	v_mul_f16_e32 v106, 0xb3a8, v31
	v_add_f16_e32 v61, v61, v98
	v_bfi_b32 v98, 0xffff, v104, v103
	v_add_f16_e32 v54, v54, v111
	v_add_f16_e32 v63, v63, v114
	v_fma_f16 v68, v38, 0xbbc4, -v65
	v_fmac_f16_e32 v102, 0x2fb7, v37
	v_add_f16_e32 v48, v100, v48
	v_fmamk_f16 v100, v105, 0xbbc4, v106
	v_mul_f16_sdwa v64, v31, v64 dst_sel:DWORD dst_unused:UNUSED_PAD src0_sel:WORD_1 src1_sel:DWORD
	v_pk_add_f16 v45, v98, v45
	v_fma_f16 v98, v105, 0xbbc4, -v106
	v_add_f16_e32 v68, v68, v107
	v_fmac_f16_e32 v65, 0xbbc4, v38
	v_add_f16_e32 v54, v102, v54
	v_add_f16_e32 v63, v100, v63
	v_mul_f16_e32 v100, 0x3b7b, v31
	v_fma_f16 v102, v37, 0xb5ac, -v64
	v_add_f16_e32 v62, v98, v62
	v_mul_f16_sdwa v98, v31, v50 dst_sel:DWORD dst_unused:UNUSED_PAD src0_sel:WORD_1 src1_sel:DWORD
	v_add_f16_e32 v65, v65, v101
	v_add_f16_e32 v67, v67, v115
	;; [unrolled: 1-line block ×3, first 2 shown]
	v_mul_f16_sdwa v46, v36, v46 dst_sel:DWORD dst_unused:UNUSED_PAD src0_sel:WORD_1 src1_sel:DWORD
	v_pk_add_f16 v59, v104, v59
	v_fmamk_f16 v104, v105, 0xb5ac, v100
	v_add_f16_e32 v68, v102, v68
	v_fmac_f16_e32 v64, 0xb5ac, v37
	v_fma_f16 v100, v105, 0xb5ac, -v100
	v_fma_f16 v102, v37, 0x3b15, -v98
	;; [unrolled: 1-line block ×3, first 2 shown]
	v_add_f16_e32 v71, v104, v71
	v_mul_f16_e32 v104, 0x3770, v31
	v_add_f16_e32 v64, v64, v65
	v_add_f16_e32 v65, v100, v67
	;; [unrolled: 1-line block ×3, first 2 shown]
	v_mul_f16_sdwa v89, v31, v42 dst_sel:DWORD dst_unused:UNUSED_PAD src0_sel:WORD_1 src1_sel:DWORD
	v_add_f16_e32 v101, v101, v112
	v_fmac_f16_e32 v46, 0x2fb7, v38
	v_fmamk_f16 v100, v105, 0x3b15, v104
	v_fmac_f16_e32 v98, 0x3b15, v37
	v_fma_f16 v102, v105, 0x3b15, -v104
	v_mul_f16_e32 v104, 0xba95, v31
	v_fma_f16 v106, v37, 0x388b, -v89
	v_add_f16_e32 v46, v46, v109
	v_add_f16_e32 v99, v100, v99
	;; [unrolled: 1-line block ×4, first 2 shown]
	v_fmamk_f16 v98, v105, 0x388b, v104
	v_add_f16_e32 v100, v106, v101
	v_fmac_f16_e32 v89, 0x388b, v37
	v_mul_f16_sdwa v101, v70, v40 dst_sel:DWORD dst_unused:UNUSED_PAD src0_sel:WORD_1 src1_sel:DWORD
	v_pk_mul_f16 v102, 0xb5acb9fd, v72
	v_add_f16_e32 v97, v98, v97
	v_fma_f16 v98, v105, 0x388b, -v104
	v_add_f16_e32 v46, v89, v46
	v_fma_f16 v89, v72, 0xb5ac, -v101
	v_pk_fma_f16 v104, 0x394ebb7b, v70, v102 op_sel:[0,0,1] op_sel_hi:[1,1,0] neg_lo:[0,1,0] neg_hi:[0,1,0]
	v_pk_fma_f16 v102, 0x394ebb7b, v70, v102 op_sel:[0,0,1] op_sel_hi:[1,1,0]
	v_lshrrev_b32_e32 v105, 16, v72
	v_mul_f16_e32 v106, 0x394e, v70
	v_add_f16_e32 v61, v98, v61
	v_add_f16_e32 v48, v89, v48
	v_bfi_b32 v98, 0xffff, v102, v104
	v_mul_f16_sdwa v44, v70, v44 dst_sel:DWORD dst_unused:UNUSED_PAD src0_sel:WORD_1 src1_sel:DWORD
	v_fmamk_f16 v89, v105, 0xb9fd, v106
	v_fmac_f16_e32 v101, 0xb5ac, v72
	v_pk_add_f16 v59, v102, v59
	v_pk_add_f16 v45, v98, v45
	v_fma_f16 v98, v105, 0xb9fd, -v106
	v_add_f16_e32 v63, v89, v63
	v_mul_f16_e32 v89, 0x3770, v70
	v_fma_f16 v102, v72, 0x2fb7, -v44
	v_add_f16_e32 v54, v101, v54
	v_mul_f16_sdwa v101, v70, v50 dst_sel:DWORD dst_unused:UNUSED_PAD src0_sel:WORD_1 src1_sel:DWORD
	v_add_f16_e32 v62, v98, v62
	v_fmamk_f16 v98, v105, 0x3b15, v89
	v_fma_f16 v89, v105, 0x3b15, -v89
	v_add_f16_e32 v67, v102, v67
	v_fmac_f16_e32 v44, 0x2fb7, v72
	v_mul_f16_e32 v102, 0x33a8, v70
	v_fma_f16 v106, v72, 0x3b15, -v101
	v_fmac_f16_e32 v101, 0x3b15, v72
	v_add_f16_e32 v71, v98, v71
	v_mul_f16_e32 v98, 0xbbf1, v70
	v_add_f16_e32 v65, v89, v65
	v_mul_f16_sdwa v89, v70, v60 dst_sel:DWORD dst_unused:UNUSED_PAD src0_sel:WORD_1 src1_sel:DWORD
	v_add_f16_e32 v44, v44, v47
	v_fmamk_f16 v47, v105, 0xbbc4, v102
	v_add_f16_e32 v68, v106, v68
	v_add_f16_e32 v64, v101, v64
	v_fmamk_f16 v101, v105, 0x2fb7, v98
	v_fma_f16 v98, v105, 0x2fb7, -v98
	v_fma_f16 v106, v72, 0xbbc4, -v89
	v_add_f16_e32 v47, v47, v97
	v_mul_f16_sdwa v97, v35, v41 dst_sel:DWORD dst_unused:UNUSED_PAD src0_sel:WORD_1 src1_sel:DWORD
	v_add_f16_e32 v99, v101, v99
	v_add_f16_e32 v96, v98, v96
	;; [unrolled: 1-line block ×3, first 2 shown]
	v_fma_f16 v101, v105, 0xbbc4, -v102
	v_fma_f16 v102, v69, 0xb9fd, -v97
	v_fmac_f16_e32 v97, 0xb9fd, v69
	v_lshrrev_b32_e32 v105, 16, v69
	v_mul_f16_e32 v106, 0x3bf1, v35
	v_mul_f16_sdwa v42, v35, v42 dst_sel:DWORD dst_unused:UNUSED_PAD src0_sel:WORD_1 src1_sel:DWORD
	v_add_f16_e32 v61, v101, v61
	v_add_f16_e32 v54, v97, v54
	;; [unrolled: 1-line block ×3, first 2 shown]
	v_fmamk_f16 v97, v105, 0x2fb7, v106
	v_mul_f16_e32 v101, 0xba95, v35
	v_fma_f16 v102, v105, 0x2fb7, -v106
	v_mul_f16_sdwa v60, v35, v60 dst_sel:DWORD dst_unused:UNUSED_PAD src0_sel:WORD_1 src1_sel:DWORD
	v_mul_f16_sdwa v50, v35, v50 dst_sel:DWORD dst_unused:UNUSED_PAD src0_sel:WORD_1 src1_sel:DWORD
	v_add_f16_e32 v63, v97, v63
	v_fma_f16 v97, v69, 0x388b, -v42
	v_fmamk_f16 v106, v105, 0x388b, v101
	v_add_f16_e32 v62, v102, v62
	v_fmac_f16_e32 v42, 0x388b, v69
	v_fma_f16 v102, v69, 0xbbc4, -v60
	v_add_f16_e32 v68, v97, v68
	v_mul_f16_e32 v97, 0x33a8, v35
	v_add_f16_e32 v71, v106, v71
	v_add_f16_e32 v42, v42, v64
	;; [unrolled: 1-line block ×3, first 2 shown]
	v_fmac_f16_e32 v60, 0xbbc4, v69
	v_fmamk_f16 v102, v105, 0xbbc4, v97
	v_fma_f16 v97, v105, 0xbbc4, -v97
	v_fma_f16 v106, v69, 0x3b15, -v50
	v_fmac_f16_e32 v89, 0xbbc4, v72
	v_add_f16_e32 v44, v60, v44
	v_pk_mul_f16 v100, 0xb9fd2fb7, v69
	v_add_f16_e32 v60, v97, v96
	v_add_f16_e32 v96, v106, v98
	v_pk_add_f16 v98, v14, v15 neg_lo:[0,1] neg_hi:[0,1]
	v_add_f16_e32 v46, v89, v46
	v_pk_add_f16 v14, v15, v14
	v_fmac_f16_e32 v50, 0x3b15, v69
	v_pk_fma_f16 v89, 0x3bf1b94e, v35, v100 op_sel:[0,0,1] op_sel_hi:[1,1,0] neg_lo:[0,1,0] neg_hi:[0,1,0]
	v_mul_f16_sdwa v43, v98, v43 dst_sel:DWORD dst_unused:UNUSED_PAD src0_sel:WORD_1 src1_sel:DWORD
	v_pk_fma_f16 v100, 0x3bf1b94e, v35, v100 op_sel:[0,0,1] op_sel_hi:[1,1,0]
	v_mul_f16_e32 v67, 0x3770, v35
	v_add_f16_e32 v99, v102, v99
	v_fma_f16 v97, v105, 0x388b, -v101
	v_add_f16_e32 v33, v53, v33
	v_add_f16_e32 v46, v50, v46
	v_fma_f16 v50, v14, 0xbbc4, -v43
	v_lshrrev_b32_e32 v101, 16, v14
	v_mul_f16_e32 v102, 0x3770, v98
	v_fmac_f16_e32 v43, 0xbbc4, v14
	v_bfi_b32 v107, 0xffff, v100, v89
	v_fma_f16 v15, v105, 0x3b15, -v67
	v_add_f16_e32 v33, v103, v33
	v_pk_mul_f16 v53, 0xbbc43b15, v14
	v_add_f16_e32 v43, v43, v54
	v_fma_f16 v54, v101, 0x3b15, -v102
	v_pk_add_f16 v45, v107, v45
	v_fmamk_f16 v107, v105, 0x3b15, v67
	v_add_f16_e32 v15, v15, v61
	v_add_f16_e32 v33, v104, v33
	v_pk_fma_f16 v61, 0x3770b3a8, v98, v53 op_sel:[0,0,1] op_sel_hi:[1,1,0] neg_lo:[0,1,0] neg_hi:[0,1,0]
	v_pk_fma_f16 v67, 0x3770b3a8, v98, v53 op_sel:[0,0,1] op_sel_hi:[1,1,0]
	v_add_f16_e32 v54, v54, v62
	v_mul_f16_sdwa v58, v98, v58 dst_sel:DWORD dst_unused:UNUSED_PAD src0_sel:WORD_1 src1_sel:DWORD
	v_mul_f16_e32 v62, 0x3a95, v98
	v_add_f16_e32 v33, v89, v33
	v_add_f16_e32 v48, v50, v48
	v_bfi_b32 v50, 0xffff, v67, v61
	v_fmamk_f16 v67, v101, 0x3b15, v102
	v_fma_f16 v89, v14, 0x388b, -v58
	v_fmamk_f16 v102, v101, 0x388b, v62
	v_fmac_f16_e32 v58, 0x388b, v14
	v_fma_f16 v62, v101, 0x388b, -v62
	v_pk_mul_f16 v38, 0x3b15, v38 op_sel_hi:[0,1]
	v_pk_mul_f16 v37, 0xb9fd, v37 op_sel_hi:[0,1]
	v_add_f16_e32 v33, v61, v33
	v_add_f16_e32 v44, v58, v44
	;; [unrolled: 1-line block ×3, first 2 shown]
	v_pk_fma_f16 v62, 0x3770, v36, v38 op_sel:[0,0,1] op_sel_hi:[0,1,0] neg_lo:[0,1,0] neg_hi:[0,1,0]
	v_pk_fma_f16 v36, 0x3770, v36, v38 op_sel:[0,0,1] op_sel_hi:[0,1,0]
	v_mul_f16_sdwa v41, v98, v41 dst_sel:DWORD dst_unused:UNUSED_PAD src0_sel:WORD_1 src1_sel:DWORD
	v_mul_f16_e32 v61, 0xb9fd, v101
	v_pk_add_f16 v45, v50, v45
	v_pk_add_f16 v32, v62, v32
	;; [unrolled: 1-line block ×3, first 2 shown]
	v_pk_fma_f16 v36, 0xb94e, v31, v37 op_sel:[0,0,1] op_sel_hi:[0,1,0] neg_lo:[0,1,0] neg_hi:[0,1,0]
	v_pk_fma_f16 v31, 0xb94e, v31, v37 op_sel:[0,0,1] op_sel_hi:[0,1,0]
	v_pk_mul_f16 v37, 0x388b, v72 op_sel_hi:[0,1]
	v_add_f16_e32 v50, v67, v63
	v_fma_f16 v63, v14, 0xb9fd, -v41
	v_fmamk_f16 v67, v98, 0xb94e, v61
	v_fmac_f16_e32 v41, 0xb9fd, v14
	v_mul_f16_sdwa v40, v98, v40 dst_sel:DWORD dst_unused:UNUSED_PAD src0_sel:WORD_1 src1_sel:DWORD
	v_pk_add_f16 v32, v36, v32
	v_pk_add_f16 v18, v31, v18
	v_pk_fma_f16 v31, 0x3a95, v70, v37 op_sel:[0,0,1] op_sel_hi:[0,1,0] neg_lo:[0,1,0] neg_hi:[0,1,0]
	v_pk_fma_f16 v36, 0x3a95, v70, v37 op_sel:[0,0,1] op_sel_hi:[0,1,0]
	v_pk_mul_f16 v37, 0xb5ac, v69 op_sel_hi:[0,1]
	v_add_f16_e32 v63, v63, v68
	v_add_f16_e32 v67, v67, v71
	;; [unrolled: 1-line block ×5, first 2 shown]
	v_mul_f16_e32 v68, 0xbb7b, v98
	v_fma_f16 v71, v14, 0xb5ac, -v40
	v_fmac_f16_e32 v40, 0xb5ac, v14
	v_pk_add_f16 v31, v31, v32
	v_pk_fma_f16 v32, 0xbb7b, v35, v37 op_sel:[0,0,1] op_sel_hi:[0,1,0] neg_lo:[0,1,0] neg_hi:[0,1,0]
	v_add_f16_e32 v47, v107, v47
	v_fmamk_f16 v60, v101, 0xb5ac, v68
	v_add_f16_e32 v40, v40, v46
	v_fma_f16 v46, v101, 0xb5ac, -v68
	v_pk_add_f16 v18, v36, v18
	v_pk_fma_f16 v35, 0xbb7b, v35, v37 op_sel:[0,0,1] op_sel_hi:[0,1,0]
	v_pack_b32_f16 v36, v42, v64
	v_pk_mul_f16 v14, 0x2fb7, v14 op_sel_hi:[0,1]
	v_pk_mul_f16 v42, 0x3770b3a8, v98
	v_pk_add_f16 v31, v32, v31
	v_mul_f16_e32 v32, 0xb94e, v98
	v_add_f16_e32 v38, v60, v47
	v_add_f16_e32 v15, v46, v15
	v_alignbit_b32 v46, v50, v45, 16
	v_pack_b32_f16 v45, v48, v45
	v_pk_fma_f16 v47, 0x3bf1, v98, v14 op_sel:[0,0,1] op_sel_hi:[0,1,0] neg_lo:[0,1,0] neg_hi:[0,1,0]
	v_pack_b32_f16 v48, v97, v53
	v_bfi_b32 v42, 0xffff, v65, v42
	v_pk_add_f16 v35, v35, v18
	v_bfi_b32 v18, 0xffff, v32, v59
	v_mul_lo_u16 v32, v84, 13
	s_load_dwordx2 s[2:3], s[4:5], 0x8
	v_pk_add_f16 v31, v47, v31
	v_pk_add_f16 v42, v48, v42
	v_pk_add_f16 v47, v61, v18 neg_lo:[0,1] neg_hi:[0,1]
	v_and_b32_e32 v32, 0xffff, v32
	v_pk_add_f16 v48, v100, v59
	v_pk_fma_f16 v14, 0x3bf1, v98, v14 op_sel:[0,0,1] op_sel_hi:[0,1,0]
	v_add_f16_e32 v71, v71, v96
	v_fma_f16 v166, v162, 0xb9fd, -v166
	v_lshl_add_u32 v101, v32, 2, v88
	v_bfi_b32 v32, 0xffff, v47, v48
	v_fma_f16 v168, v162, 0x388b, -v168
	v_fma_f16 v162, v162, 0xb5ac, -v170
	v_add_co_u32 v53, s0, 0x5b, v84
	v_pk_add_f16 v14, v14, v35
	v_pack_b32_f16 v37, v63, v67
	v_pack_b32_f16 v38, v71, v38
	v_pk_add_f16 v32, v32, v42
	v_add_co_ci_u32_e64 v18, null, 0, 0, s0
	v_add_f16_e32 v93, v166, v95
	v_add_f16_e32 v94, v168, v110
	v_add_f16_e32 v95, v162, v116
	v_add_f16_e32 v18, v66, v113
	s_waitcnt lgkmcnt(0)
	s_barrier
	buffer_gl0_inv
	ds_write2_b32 v101, v45, v46 offset0:1 offset1:2
	ds_write2_b32 v101, v37, v36 offset0:3 offset1:4
	ds_write2_b32 v101, v34, v38 offset1:5
	v_alignbit_b32 v34, v31, v14, 16
	v_alignbit_b32 v14, v14, v31, 16
	v_mul_u32_u24_e32 v97, 13, v53
	v_pack_b32_f16 v31, v44, v58
	v_pack_b32_f16 v15, v40, v15
	v_alignbit_b32 v35, v54, v32, 16
	v_pack_b32_f16 v32, v41, v32
	v_pack_b32_f16 v33, v43, v33
	ds_write2_b32 v101, v14, v34 offset0:6 offset1:7
	ds_write2_b32 v101, v15, v31 offset0:8 offset1:9
	;; [unrolled: 1-line block ×3, first 2 shown]
	ds_write_b32 v101, v33 offset:48
	s_and_saveexec_b32 s0, vcc_lo
	s_cbranch_execz .LBB0_7
; %bb.6:
	v_pk_add_f16 v0, v1, v0
	v_lshl_add_u32 v1, v97, 2, v88
	v_perm_b32 v14, v93, v27, 0x5040100
	v_perm_b32 v15, v91, v90, 0x5040100
	v_pk_add_f16 v0, v10, v0
	v_perm_b32 v10, v94, v30, 0x5040100
	v_pk_add_f16 v0, v11, v0
	;; [unrolled: 2-line block ×4, first 2 shown]
	v_bfi_b32 v9, 0xffff, v19, v57
	v_pk_add_f16 v0, v6, v0
	v_perm_b32 v6, v51, v13, 0x5040100
	v_pk_add_f16 v0, v7, v0
	v_perm_b32 v7, v56, v18, 0x5040100
	;; [unrolled: 2-line block ×4, first 2 shown]
	v_pk_add_f16 v0, v2, v0
	v_bfi_b32 v2, 0xffff, v57, v19
	ds_write2_b32 v1, v6, v5 offset0:2 offset1:3
	v_pk_add_f16 v0, v3, v0
	v_perm_b32 v3, v92, v28, 0x5040100
	v_pk_add_f16 v0, v39, v0
	ds_write2_b32 v1, v8, v7 offset0:4 offset1:5
	ds_write2_b32 v1, v9, v2 offset0:6 offset1:7
	;; [unrolled: 1-line block ×4, first 2 shown]
	ds_write2_b32 v1, v0, v4 offset1:1
	ds_write_b32 v1, v15 offset:48
.LBB0_7:
	s_or_b32 exec_lo, exec_lo, s0
	v_add_nc_u32_e32 v2, 0x400, v73
	v_add_nc_u32_e32 v0, 0x200, v73
	;; [unrolled: 1-line block ×6, first 2 shown]
	s_waitcnt lgkmcnt(0)
	s_barrier
	buffer_gl0_inv
	ds_read2_b32 v[14:15], v73 offset1:91
	ds_read2_b32 v[37:38], v0 offset0:67 offset1:158
	ds_read2_b32 v[47:48], v2 offset0:134 offset1:225
	;; [unrolled: 1-line block ×6, first 2 shown]
	v_cmp_gt_u16_e64 s0, 13, v84
	v_lshrrev_b32_e32 v50, 16, v57
	s_and_saveexec_b32 s1, s0
	s_cbranch_execz .LBB0_9
; %bb.8:
	v_add_nc_u32_e32 v2, 0xf00, v73
	ds_read2_b32 v[12:13], v0 offset0:54 offset1:249
	ds_read2_b32 v[16:17], v1 offset0:60 offset1:255
	;; [unrolled: 1-line block ×3, first 2 shown]
	ds_read_b32 v57, v73 offset:5408
	s_waitcnt lgkmcnt(3)
	v_lshrrev_b32_e32 v49, 16, v12
	v_lshrrev_b32_e32 v51, 16, v13
	s_waitcnt lgkmcnt(2)
	v_lshrrev_b32_e32 v52, 16, v16
	v_lshrrev_b32_e32 v55, 16, v17
	;; [unrolled: 3-line block ×3, first 2 shown]
	s_waitcnt lgkmcnt(0)
	v_bfi_b32 v19, 0xffff, v19, v57
.LBB0_9:
	s_or_b32 exec_lo, exec_lo, s1
	v_and_b32_e32 v0, 0xff, v84
	v_add_co_u32 v54, null, 0xb6, v84
	v_mov_b32_e32 v2, 6
	v_mov_b32_e32 v67, 0x5b
	v_mul_lo_u16 v0, 0x4f, v0
	s_waitcnt lgkmcnt(5)
	v_lshrrev_b32_e32 v63, 16, v37
	s_waitcnt lgkmcnt(4)
	v_lshrrev_b32_e32 v64, 16, v47
	;; [unrolled: 2-line block ×4, first 2 shown]
	v_lshrrev_b16 v58, 10, v0
	v_and_b32_e32 v0, 0xff, v53
	v_lshrrev_b32_e32 v65, 16, v45
	v_lshrrev_b32_e32 v66, 16, v43
	;; [unrolled: 1-line block ×3, first 2 shown]
	v_mul_lo_u16 v1, v58, 13
	v_mul_lo_u16 v0, 0x4f, v0
	v_mul_u32_u24_sdwa v58, v58, v67 dst_sel:DWORD dst_unused:UNUSED_PAD src0_sel:WORD_0 src1_sel:DWORD
	v_lshrrev_b32_e32 v71, 16, v48
	v_lshrrev_b32_e32 v89, 16, v42
	v_sub_nc_u16 v59, v84, v1
	v_lshrrev_b16 v60, 10, v0
	v_mov_b32_e32 v0, 0x4ec5
	v_lshrrev_b32_e32 v72, 16, v44
	v_mul_u32_u24_sdwa v1, v59, v2 dst_sel:DWORD dst_unused:UNUSED_PAD src0_sel:BYTE_0 src1_sel:DWORD
	v_mul_lo_u16 v3, v60, 13
	v_mul_u32_u24_sdwa v0, v54, v0 dst_sel:DWORD dst_unused:UNUSED_PAD src0_sel:WORD_0 src1_sel:DWORD
	v_mul_u32_u24_sdwa v60, v60, v67 dst_sel:DWORD dst_unused:UNUSED_PAD src0_sel:WORD_0 src1_sel:DWORD
	v_add_nc_u32_sdwa v58, v58, v59 dst_sel:DWORD dst_unused:UNUSED_PAD src0_sel:DWORD src1_sel:BYTE_0
	v_lshlrev_b32_e32 v1, 2, v1
	v_sub_nc_u16 v61, v53, v3
	v_lshrrev_b32_e32 v0, 18, v0
	v_lshrrev_b32_e32 v67, 16, v46
	v_lshl_add_u32 v99, v58, 2, v88
	s_clause 0x1
	global_load_dwordx4 v[8:11], v1, s[2:3]
	global_load_dwordx2 v[35:36], v1, s[2:3] offset:16
	v_mul_lo_u16 v0, v0, 13
	v_mul_u32_u24_sdwa v2, v61, v2 dst_sel:DWORD dst_unused:UNUSED_PAD src0_sel:BYTE_0 src1_sel:DWORD
	v_add_nc_u32_sdwa v59, v60, v61 dst_sel:DWORD dst_unused:UNUSED_PAD src0_sel:DWORD src1_sel:BYTE_0
	v_lshrrev_b32_e32 v60, 16, v40
	v_lshrrev_b32_e32 v61, 16, v19
	v_sub_nc_u16 v62, v54, v0
	v_mov_b32_e32 v0, 2
	v_lshlrev_b32_e32 v2, 2, v2
	v_lshl_add_u32 v98, v59, 2, v88
	v_mul_lo_u16 v1, v62, 6
	v_and_b32_e32 v96, 0xffff, v62
	global_load_dwordx4 v[4:7], v2, s[2:3]
	v_lshlrev_b32_sdwa v31, v0, v1 dst_sel:DWORD dst_unused:UNUSED_PAD src0_sel:DWORD src1_sel:WORD_0
	s_clause 0x2
	global_load_dwordx2 v[33:34], v2, s[2:3] offset:16
	global_load_dwordx4 v[0:3], v31, s[2:3]
	global_load_dwordx2 v[31:32], v31, s[2:3] offset:16
	s_waitcnt vmcnt(0)
	s_barrier
	buffer_gl0_inv
	v_mul_f16_sdwa v58, v63, v8 dst_sel:DWORD dst_unused:UNUSED_PAD src0_sel:DWORD src1_sel:WORD_1
	v_mul_f16_sdwa v59, v37, v8 dst_sel:DWORD dst_unused:UNUSED_PAD src0_sel:DWORD src1_sel:WORD_1
	;; [unrolled: 1-line block ×12, first 2 shown]
	v_fma_f16 v37, v37, v8, -v58
	v_fmac_f16_e32 v59, v63, v8
	v_mul_f16_sdwa v110, v70, v4 dst_sel:DWORD dst_unused:UNUSED_PAD src0_sel:DWORD src1_sel:WORD_1
	v_mul_f16_sdwa v111, v38, v4 dst_sel:DWORD dst_unused:UNUSED_PAD src0_sel:DWORD src1_sel:WORD_1
	;; [unrolled: 1-line block ×24, first 2 shown]
	v_fma_f16 v47, v47, v9, -v62
	v_fmac_f16_e32 v100, v64, v9
	v_fma_f16 v41, v41, v35, -v106
	v_fmac_f16_e32 v107, v68, v35
	;; [unrolled: 2-line block ×17, first 2 shown]
	v_add_f16_e32 v51, v37, v39
	v_add_f16_e32 v52, v59, v109
	;; [unrolled: 1-line block ×4, first 2 shown]
	v_sub_f16_e32 v37, v37, v39
	v_sub_f16_e32 v39, v59, v109
	;; [unrolled: 1-line block ×4, first 2 shown]
	v_add_f16_e32 v57, v45, v43
	v_add_f16_e32 v58, v103, v105
	v_sub_f16_e32 v43, v43, v45
	v_sub_f16_e32 v45, v105, v103
	v_add_f16_e32 v59, v38, v40
	v_add_f16_e32 v60, v111, v121
	;; [unrolled: 1-line block ×4, first 2 shown]
	v_sub_f16_e32 v38, v38, v40
	v_sub_f16_e32 v40, v111, v121
	;; [unrolled: 1-line block ×4, first 2 shown]
	v_add_f16_e32 v63, v46, v44
	v_add_f16_e32 v64, v115, v117
	v_sub_f16_e32 v44, v44, v46
	v_sub_f16_e32 v46, v117, v115
	v_add_f16_e32 v65, v13, v50
	v_add_f16_e32 v66, v123, v133
	v_sub_f16_e32 v13, v13, v50
	v_sub_f16_e32 v50, v123, v133
	;; [unrolled: 4-line block ×3, first 2 shown]
	v_add_f16_e32 v69, v17, v18
	v_sub_f16_e32 v17, v18, v17
	v_sub_f16_e32 v18, v129, v127
	v_add_f16_e32 v71, v55, v51
	v_add_f16_e32 v72, v56, v52
	v_sub_f16_e32 v89, v55, v51
	v_sub_f16_e32 v100, v56, v52
	;; [unrolled: 1-line block ×6, first 2 shown]
	v_add_f16_e32 v102, v43, v41
	v_add_f16_e32 v103, v45, v47
	v_sub_f16_e32 v104, v43, v41
	v_sub_f16_e32 v105, v45, v47
	;; [unrolled: 1-line block ×4, first 2 shown]
	v_add_f16_e32 v106, v61, v59
	v_add_f16_e32 v107, v62, v60
	;; [unrolled: 1-line block ×3, first 2 shown]
	v_sub_f16_e32 v108, v61, v59
	v_sub_f16_e32 v109, v62, v60
	;; [unrolled: 1-line block ×5, first 2 shown]
	v_add_f16_e32 v110, v44, v42
	v_add_f16_e32 v111, v46, v48
	v_sub_f16_e32 v112, v44, v42
	v_sub_f16_e32 v113, v46, v48
	;; [unrolled: 1-line block ×4, first 2 shown]
	v_add_f16_e32 v114, v67, v65
	v_add_f16_e32 v115, v68, v66
	;; [unrolled: 1-line block ×3, first 2 shown]
	v_sub_f16_e32 v120, v17, v16
	v_sub_f16_e32 v121, v18, v19
	;; [unrolled: 1-line block ×3, first 2 shown]
	v_add_f16_e32 v57, v57, v71
	v_add_f16_e32 v58, v58, v72
	v_sub_f16_e32 v43, v37, v43
	v_sub_f16_e32 v45, v39, v45
	;; [unrolled: 1-line block ×3, first 2 shown]
	v_add_f16_e32 v37, v102, v37
	v_add_f16_e32 v39, v103, v39
	v_mul_f16_e32 v51, 0x3a52, v51
	v_mul_f16_e32 v52, 0x3a52, v52
	;; [unrolled: 1-line block ×8, first 2 shown]
	v_add_f16_e32 v63, v63, v106
	v_add_f16_e32 v64, v64, v107
	v_sub_f16_e32 v44, v38, v44
	v_sub_f16_e32 v46, v40, v46
	;; [unrolled: 1-line block ×8, first 2 shown]
	v_add_f16_e32 v118, v17, v16
	v_sub_f16_e32 v18, v50, v18
	v_sub_f16_e32 v16, v16, v13
	v_add_f16_e32 v38, v110, v38
	v_add_f16_e32 v40, v111, v40
	v_mul_f16_e32 v60, 0x3a52, v60
	v_mul_f16_e32 v106, 0x2b26, v61
	;; [unrolled: 1-line block ×7, first 2 shown]
	v_add_f16_e32 v69, v69, v114
	v_add_f16_e32 v70, v70, v115
	;; [unrolled: 1-line block ×3, first 2 shown]
	v_mul_f16_e32 v119, 0xb846, v120
	v_mul_f16_e32 v120, 0xb846, v121
	;; [unrolled: 1-line block ×3, first 2 shown]
	v_add_f16_e32 v123, v14, v57
	v_add_f16_sdwa v14, v14, v58 dst_sel:DWORD dst_unused:UNUSED_PAD src0_sel:WORD_1 src1_sel:DWORD
	v_mul_f16_e32 v59, 0x3a52, v59
	v_fmamk_f16 v55, v55, 0x2b26, v51
	v_fmamk_f16 v56, v56, 0x2b26, v52
	v_fma_f16 v71, v89, 0x39e0, -v71
	v_fma_f16 v72, v100, 0x39e0, -v72
	v_fma_f16 v51, v89, 0xb9e0, -v51
	v_fma_f16 v52, v100, 0xb9e0, -v52
	v_fmamk_f16 v89, v43, 0x3574, v102
	v_fmamk_f16 v100, v45, 0x3574, v103
	v_fma_f16 v41, v41, 0x3b00, -v102
	v_fma_f16 v47, v47, 0x3b00, -v103
	;; [unrolled: 1-line block ×4, first 2 shown]
	v_add_f16_e32 v102, v15, v63
	v_add_f16_sdwa v15, v15, v64 dst_sel:DWORD dst_unused:UNUSED_PAD src0_sel:WORD_1 src1_sel:DWORD
	v_sub_f16_e32 v17, v13, v17
	v_add_f16_e32 v114, v118, v13
	v_mul_f16_e32 v65, 0x3a52, v65
	v_mul_f16_e32 v66, 0x3a52, v66
	;; [unrolled: 1-line block ×5, first 2 shown]
	v_fmamk_f16 v62, v62, 0x2b26, v60
	v_fma_f16 v103, v108, 0x39e0, -v106
	v_fma_f16 v104, v109, 0x39e0, -v107
	v_fma_f16 v60, v109, 0xb9e0, -v60
	v_fmamk_f16 v105, v44, 0x3574, v110
	v_fmamk_f16 v106, v46, 0x3574, v111
	v_fma_f16 v42, v42, 0x3b00, -v110
	v_fma_f16 v48, v48, 0x3b00, -v111
	;; [unrolled: 1-line block ×4, first 2 shown]
	v_add_f16_e32 v12, v12, v69
	v_add_f16_e32 v13, v49, v70
	v_fmamk_f16 v109, v18, 0x3574, v120
	v_fma_f16 v19, v19, 0x3b00, -v120
	v_fma_f16 v18, v18, 0xb574, -v122
	v_fmamk_f16 v57, v57, 0xbcab, v123
	v_fmamk_f16 v58, v58, 0xbcab, v14
	;; [unrolled: 1-line block ×3, first 2 shown]
	v_fmac_f16_e32 v89, 0x370e, v37
	v_fmac_f16_e32 v100, 0x370e, v39
	;; [unrolled: 1-line block ×6, first 2 shown]
	v_fmamk_f16 v37, v63, 0xbcab, v102
	v_fmamk_f16 v39, v64, 0xbcab, v15
	v_fma_f16 v59, v108, 0xb9e0, -v59
	v_fmamk_f16 v49, v67, 0x2b26, v65
	v_fmamk_f16 v67, v68, 0x2b26, v66
	v_fma_f16 v68, v116, 0x39e0, -v115
	v_fma_f16 v107, v117, 0x39e0, -v118
	;; [unrolled: 1-line block ×4, first 2 shown]
	v_fmamk_f16 v108, v17, 0x3574, v119
	v_fma_f16 v16, v16, 0x3b00, -v119
	v_fma_f16 v17, v17, 0xb574, -v121
	v_fmac_f16_e32 v105, 0x370e, v38
	v_fmac_f16_e32 v106, 0x370e, v40
	;; [unrolled: 1-line block ×6, first 2 shown]
	v_fmamk_f16 v38, v69, 0xbcab, v12
	v_fmamk_f16 v40, v70, 0xbcab, v13
	v_fmac_f16_e32 v109, 0x370e, v50
	v_fmac_f16_e32 v19, 0x370e, v50
	;; [unrolled: 1-line block ×3, first 2 shown]
	v_add_f16_e32 v50, v55, v57
	v_add_f16_e32 v55, v56, v58
	;; [unrolled: 1-line block ×8, first 2 shown]
	v_fmac_f16_e32 v108, 0x370e, v114
	v_fmac_f16_e32 v16, 0x370e, v114
	;; [unrolled: 1-line block ×3, first 2 shown]
	v_add_f16_e32 v61, v103, v37
	v_add_f16_e32 v62, v104, v39
	;; [unrolled: 1-line block ×11, first 2 shown]
	v_sub_f16_e32 v66, v55, v89
	v_add_f16_e32 v68, v45, v51
	v_sub_f16_e32 v69, v52, v43
	v_sub_f16_e32 v70, v56, v47
	v_add_f16_e32 v71, v41, v63
	v_add_f16_e32 v56, v47, v56
	v_sub_f16_e32 v41, v63, v41
	v_sub_f16_e32 v45, v51, v45
	v_add_f16_e32 v43, v43, v52
	v_sub_f16_e32 v63, v50, v100
	v_add_f16_e32 v55, v89, v55
	v_add_f16_e32 v72, v106, v57
	v_sub_f16_e32 v89, v58, v105
	v_pack_b32_f16 v14, v123, v14
	v_pack_b32_f16 v15, v102, v15
	v_add_f16_e32 v100, v46, v37
	v_sub_f16_e32 v110, v39, v44
	v_sub_f16_e32 v111, v61, v48
	v_add_f16_e32 v112, v42, v62
	v_add_f16_e32 v61, v48, v61
	v_sub_f16_e32 v42, v62, v42
	v_sub_f16_e32 v37, v37, v46
	v_add_f16_e32 v39, v44, v39
	v_sub_f16_e32 v44, v57, v106
	v_add_f16_e32 v46, v105, v58
	v_add_f16_e32 v51, v109, v59
	v_sub_f16_e32 v107, v60, v108
	v_add_f16_e32 v52, v18, v38
	v_sub_f16_e32 v106, v40, v17
	v_sub_f16_e32 v49, v64, v19
	v_add_f16_e32 v105, v16, v67
	v_add_f16_e32 v50, v19, v64
	v_sub_f16_e32 v104, v67, v16
	v_sub_f16_e32 v47, v38, v18
	v_add_f16_e32 v103, v17, v40
	v_sub_f16_e32 v48, v59, v109
	v_add_f16_e32 v102, v108, v60
	v_pack_b32_f16 v16, v65, v66
	v_pack_b32_f16 v17, v68, v69
	;; [unrolled: 1-line block ×12, first 2 shown]
	ds_write2_b32 v99, v14, v16 offset1:13
	ds_write2_b32 v99, v17, v18 offset0:26 offset1:39
	ds_write2_b32 v99, v19, v38 offset0:52 offset1:65
	ds_write_b32 v99, v40 offset:312
	ds_write2_b32 v98, v15, v41 offset1:13
	ds_write2_b32 v98, v43, v45 offset0:26 offset1:39
	ds_write2_b32 v98, v42, v37 offset0:52 offset1:65
	ds_write_b32 v98, v39 offset:312
	s_and_saveexec_b32 s1, s0
	s_cbranch_execz .LBB0_11
; %bb.10:
	v_lshl_add_u32 v14, v96, 2, v88
	v_perm_b32 v12, v13, v12, 0x5040100
	v_perm_b32 v13, v107, v51, 0x5040100
	;; [unrolled: 1-line block ×4, first 2 shown]
	v_add_nc_u32_e32 v17, 0x1200, v14
	v_add_nc_u32_e32 v18, 0x1400, v14
	v_perm_b32 v19, v104, v50, 0x5040100
	v_perm_b32 v37, v103, v47, 0x5040100
	;; [unrolled: 1-line block ×3, first 2 shown]
	ds_write2_b32 v17, v12, v13 offset0:122 offset1:135
	ds_write2_b32 v18, v15, v16 offset0:20 offset1:33
	;; [unrolled: 1-line block ×3, first 2 shown]
	ds_write_b32 v14, v38 offset:5408
.LBB0_11:
	s_or_b32 exec_lo, exec_lo, s1
	v_mov_b32_e32 v16, 0x6817
	v_lshlrev_b32_e32 v67, 4, v84
	s_waitcnt lgkmcnt(0)
	s_barrier
	buffer_gl0_inv
	v_mul_u32_u24_sdwa v16, v54, v16 dst_sel:DWORD dst_unused:UNUSED_PAD src0_sel:WORD_0 src1_sel:DWORD
	global_load_dwordx4 v[12:15], v67, s[2:3] offset:312
	v_add_nc_u32_e32 v59, 0x200, v73
	v_add_nc_u32_e32 v57, 0x800, v73
	;; [unrolled: 1-line block ×3, first 2 shown]
	v_lshrrev_b32_e32 v16, 16, v16
	v_add_nc_u32_e32 v58, 0x1000, v73
	ds_read2_b32 v[45:46], v73 offset1:91
	v_add_nc_u32_e32 v56, 0x400, v73
	v_add_nc_u32_e32 v60, 0xc00, v73
	v_sub_nc_u16 v17, v54, v16
	v_lshlrev_b32_e32 v61, 3, v84
	v_lshlrev_b32_e32 v53, 3, v53
	v_lshrrev_b16 v17, 1, v17
	v_add_nc_u16 v16, v17, v16
	v_lshrrev_b16 v16, 6, v16
	s_waitcnt lgkmcnt(0)
	v_lshrrev_b32_e32 v70, 16, v45
	v_lshrrev_b32_e32 v71, 16, v46
	v_mul_lo_u16 v16, 0x5b, v16
	v_sub_nc_u16 v69, v54, v16
	v_lshlrev_b16 v16, 4, v69
	v_and_b32_e32 v69, 0xffff, v69
	v_and_b32_e32 v16, 0xffff, v16
	v_lshl_add_u32 v100, v69, 2, v88
	v_add_co_u32 v16, s1, s2, v16
	v_add_co_ci_u32_e64 v17, null, s3, 0, s1
	v_add_nc_u32_e32 v118, 0xc00, v100
	v_add_nc_u32_e32 v119, 0x1000, v100
	global_load_dwordx4 v[16:19], v[16:17], off offset:312
	ds_read_b32 v62, v73 offset:5096
	ds_read2_b32 v[37:38], v59 offset0:54 offset1:145
	ds_read2_b32 v[63:64], v57 offset0:34 offset1:125
	;; [unrolled: 1-line block ×6, first 2 shown]
	s_waitcnt vmcnt(0) lgkmcnt(0)
	s_barrier
	buffer_gl0_inv
	v_add_co_u32 v67, s1, s2, v67
	v_add_co_ci_u32_e64 v68, null, s3, 0, s1
	v_sub_co_u32 v67, s1, v67, v61
	v_subrev_co_ci_u32_e64 v68, s1, 0, v68, s1
	v_lshrrev_b32_e32 v72, 16, v62
	v_lshrrev_b32_e32 v89, 16, v38
	;; [unrolled: 1-line block ×13, first 2 shown]
	v_mul_f16_sdwa v120, v89, v12 dst_sel:DWORD dst_unused:UNUSED_PAD src0_sel:DWORD src1_sel:WORD_1
	v_mul_f16_sdwa v121, v38, v12 dst_sel:DWORD dst_unused:UNUSED_PAD src0_sel:DWORD src1_sel:WORD_1
	;; [unrolled: 1-line block ×12, first 2 shown]
	v_fma_f16 v38, v38, v12, -v120
	v_fmac_f16_e32 v121, v89, v12
	v_fma_f16 v63, v63, v13, -v122
	v_fmac_f16_e32 v123, v108, v13
	;; [unrolled: 2-line block ×3, first 2 shown]
	v_fma_f16 v65, v65, v15, -v126
	v_mul_f16_sdwa v130, v112, v13 dst_sel:DWORD dst_unused:UNUSED_PAD src0_sel:DWORD src1_sel:WORD_1
	v_mul_f16_sdwa v132, v113, v14 dst_sel:DWORD dst_unused:UNUSED_PAD src0_sel:DWORD src1_sel:WORD_1
	;; [unrolled: 1-line block ×4, first 2 shown]
	v_fmac_f16_e32 v127, v110, v15
	v_fma_f16 v43, v43, v12, -v128
	v_fmac_f16_e32 v129, v111, v12
	v_fmac_f16_e32 v131, v112, v13
	;; [unrolled: 1-line block ×3, first 2 shown]
	v_add_f16_e32 v89, v45, v38
	v_add_f16_e32 v108, v63, v40
	v_sub_f16_e32 v111, v38, v63
	v_sub_f16_e32 v112, v65, v40
	v_add_f16_e32 v113, v38, v65
	v_add_f16_e32 v122, v70, v121
	;; [unrolled: 1-line block ×3, first 2 shown]
	v_fma_f16 v64, v64, v13, -v130
	v_fma_f16 v41, v41, v14, -v132
	;; [unrolled: 1-line block ×3, first 2 shown]
	v_fmac_f16_e32 v135, v114, v15
	v_add_f16_e32 v132, v121, v127
	v_sub_f16_e32 v109, v121, v127
	v_sub_f16_e32 v114, v63, v38
	;; [unrolled: 1-line block ×4, first 2 shown]
	v_add_f16_e32 v136, v46, v43
	v_add_f16_e32 v145, v71, v129
	;; [unrolled: 1-line block ×3, first 2 shown]
	v_fma_f16 v89, -0.5, v108, v45
	v_add_f16_e32 v108, v111, v112
	v_fma_f16 v45, -0.5, v113, v45
	v_add_f16_e32 v112, v122, v123
	v_fma_f16 v113, -0.5, v124, v70
	v_sub_f16_e32 v110, v123, v125
	v_sub_f16_e32 v120, v40, v65
	;; [unrolled: 1-line block ×6, first 2 shown]
	v_add_f16_e32 v137, v64, v41
	v_add_f16_e32 v142, v43, v66
	;; [unrolled: 1-line block ×4, first 2 shown]
	v_fmac_f16_e32 v70, -0.5, v132
	v_sub_f16_e32 v140, v43, v64
	v_sub_f16_e32 v143, v64, v43
	;; [unrolled: 1-line block ×3, first 2 shown]
	v_add_f16_e32 v64, v136, v64
	v_add_f16_e32 v124, v145, v131
	;; [unrolled: 1-line block ×3, first 2 shown]
	v_fmamk_f16 v63, v109, 0x3b9c, v89
	v_add_f16_e32 v112, v112, v125
	v_fmamk_f16 v125, v38, 0xbb9c, v113
	v_sub_f16_e32 v138, v129, v135
	v_sub_f16_e32 v139, v131, v133
	;; [unrolled: 1-line block ×4, first 2 shown]
	v_add_f16_e32 v111, v114, v120
	v_add_f16_e32 v114, v128, v130
	;; [unrolled: 1-line block ×3, first 2 shown]
	v_fma_f16 v121, -0.5, v137, v46
	v_fmac_f16_e32 v46, -0.5, v142
	v_fma_f16 v128, -0.5, v146, v71
	v_fmac_f16_e32 v71, -0.5, v150
	v_fmamk_f16 v131, v110, 0xbb9c, v45
	v_fmac_f16_e32 v45, 0x3b9c, v110
	v_fmamk_f16 v132, v126, 0x3b9c, v70
	v_fmac_f16_e32 v70, 0xbb9c, v126
	v_fmac_f16_e32 v89, 0xbb9c, v109
	;; [unrolled: 1-line block ×3, first 2 shown]
	v_sub_f16_e32 v141, v66, v41
	v_sub_f16_e32 v144, v41, v66
	v_add_f16_e32 v41, v64, v41
	v_add_f16_e32 v124, v124, v133
	v_fmac_f16_e32 v63, 0x38b4, v110
	v_fmac_f16_e32 v125, 0xb8b4, v126
	v_sub_f16_e32 v43, v43, v66
	v_sub_f16_e32 v151, v133, v135
	v_fmamk_f16 v134, v139, 0xbb9c, v46
	v_fmac_f16_e32 v46, 0x3b9c, v139
	v_fmamk_f16 v136, v147, 0x3b9c, v71
	v_fmac_f16_e32 v71, 0xbb9c, v147
	v_fmac_f16_e32 v131, 0x38b4, v109
	;; [unrolled: 1-line block ×7, first 2 shown]
	v_add_f16_e32 v40, v40, v65
	v_add_f16_e32 v65, v112, v127
	;; [unrolled: 1-line block ×4, first 2 shown]
	v_fmac_f16_e32 v63, 0x34f2, v108
	v_fmac_f16_e32 v125, 0x34f2, v114
	v_add_f16_e32 v123, v143, v144
	v_add_f16_e32 v129, v129, v151
	v_fmac_f16_e32 v46, 0xb8b4, v138
	v_fmac_f16_e32 v71, 0x38b4, v43
	v_fmac_f16_e32 v131, 0x34f2, v111
	v_fmac_f16_e32 v45, 0x34f2, v111
	v_fmac_f16_e32 v132, 0x34f2, v120
	v_fmac_f16_e32 v70, 0x34f2, v120
	v_fmac_f16_e32 v89, 0x34f2, v108
	v_fmac_f16_e32 v113, 0x34f2, v114
	v_pack_b32_f16 v40, v40, v65
	v_pack_b32_f16 v38, v38, v41
	;; [unrolled: 1-line block ×3, first 2 shown]
	v_sub_f16_e32 v149, v135, v133
	v_fmamk_f16 v133, v43, 0xbb9c, v128
	v_fmac_f16_e32 v128, 0x3b9c, v43
	v_fmac_f16_e32 v136, 0xb8b4, v43
	;; [unrolled: 1-line block ×4, first 2 shown]
	v_pack_b32_f16 v43, v131, v132
	v_pack_b32_f16 v45, v45, v70
	;; [unrolled: 1-line block ×3, first 2 shown]
	ds_write2_b32 v73, v40, v41 offset1:91
	ds_write2_b32 v59, v43, v45 offset0:54 offset1:145
	ds_write2_b32 v56, v63, v38 offset0:108 offset1:199
	v_mul_f16_sdwa v38, v115, v16 dst_sel:DWORD dst_unused:UNUSED_PAD src0_sel:DWORD src1_sel:WORD_1
	v_mul_f16_sdwa v40, v44, v16 dst_sel:DWORD dst_unused:UNUSED_PAD src0_sel:DWORD src1_sel:WORD_1
	;; [unrolled: 1-line block ×7, first 2 shown]
	v_pack_b32_f16 v46, v46, v71
	v_mul_f16_sdwa v71, v62, v19 dst_sel:DWORD dst_unused:UNUSED_PAD src0_sel:DWORD src1_sel:WORD_1
	v_fma_f16 v38, v44, v16, -v38
	v_fmac_f16_e32 v40, v115, v16
	v_fma_f16 v39, v39, v17, -v41
	v_fmac_f16_e32 v43, v116, v17
	;; [unrolled: 2-line block ×4, first 2 shown]
	v_add_f16_e32 v44, v37, v38
	v_add_f16_e32 v45, v39, v41
	v_sub_f16_e32 v72, v38, v39
	v_sub_f16_e32 v89, v42, v41
	v_add_f16_e32 v111, v69, v40
	v_add_f16_e32 v112, v43, v63
	;; [unrolled: 1-line block ×4, first 2 shown]
	v_sub_f16_e32 v62, v40, v71
	v_sub_f16_e32 v70, v43, v63
	;; [unrolled: 1-line block ×7, first 2 shown]
	v_add_f16_e32 v39, v44, v39
	v_fma_f16 v44, -0.5, v45, v37
	v_add_f16_e32 v45, v72, v89
	v_add_f16_e32 v43, v111, v43
	v_fma_f16 v89, -0.5, v112, v69
	v_sub_f16_e32 v110, v41, v42
	v_fmac_f16_e32 v37, -0.5, v108
	v_fmac_f16_e32 v69, -0.5, v116
	v_fmamk_f16 v64, v138, 0x3b9c, v121
	v_fmac_f16_e32 v121, 0xbb9c, v138
	v_sub_f16_e32 v115, v71, v63
	v_sub_f16_e32 v117, v63, v71
	v_add_f16_e32 v39, v39, v41
	v_fmamk_f16 v41, v62, 0x3b9c, v44
	v_add_f16_e32 v43, v43, v63
	v_fmamk_f16 v63, v38, 0xbb9c, v89
	v_add_f16_e32 v72, v109, v110
	v_fmamk_f16 v109, v70, 0xbb9c, v37
	v_fmac_f16_e32 v37, 0x3b9c, v70
	v_fmamk_f16 v110, v113, 0x3b9c, v69
	v_fmac_f16_e32 v69, 0xbb9c, v113
	v_fmac_f16_e32 v44, 0xbb9c, v62
	;; [unrolled: 1-line block ×3, first 2 shown]
	v_add_f16_e32 v122, v140, v141
	v_add_f16_e32 v130, v148, v149
	v_fmac_f16_e32 v64, 0x38b4, v139
	v_fmac_f16_e32 v134, 0x38b4, v138
	;; [unrolled: 1-line block ×5, first 2 shown]
	v_add_f16_e32 v108, v114, v115
	v_fmac_f16_e32 v41, 0x38b4, v70
	v_fmac_f16_e32 v63, 0xb8b4, v113
	v_add_f16_e32 v40, v40, v117
	v_fmac_f16_e32 v109, 0x38b4, v62
	v_fmac_f16_e32 v37, 0xb8b4, v62
	;; [unrolled: 1-line block ×12, first 2 shown]
	v_add_f16_e32 v39, v39, v42
	v_add_f16_e32 v42, v43, v71
	v_fmac_f16_e32 v41, 0x34f2, v45
	v_fmac_f16_e32 v63, 0x34f2, v108
	;; [unrolled: 1-line block ×8, first 2 shown]
	v_pack_b32_f16 v64, v64, v133
	v_pack_b32_f16 v65, v134, v136
	;; [unrolled: 1-line block ×8, first 2 shown]
	ds_write2_b32 v57, v64, v65 offset0:34 offset1:125
	ds_write2_b32 v55, v46, v66 offset0:88 offset1:179
	ds_write2_b32 v118, v38, v39 offset0:142 offset1:233
	ds_write2_b32 v119, v40, v37 offset0:68 offset1:159
	ds_write_b32 v100, v41 offset:5096
	v_lshlrev_b32_e32 v37, 3, v54
	s_waitcnt lgkmcnt(0)
	s_barrier
	buffer_gl0_inv
	s_clause 0x2
	global_load_dwordx2 v[45:46], v[67:68], off offset:1768
	global_load_dwordx2 v[43:44], v53, s[2:3] offset:1768
	global_load_dwordx2 v[41:42], v37, s[2:3] offset:1768
	v_add_nc_u32_e32 v38, 0x888, v61
	v_add_nc_u32_e32 v37, 0xb60, v61
	s_clause 0x1
	global_load_dwordx2 v[39:40], v38, s[2:3] offset:1768
	global_load_dwordx2 v[37:38], v37, s[2:3] offset:1768
	ds_read2_b32 v[62:63], v73 offset1:91
	ds_read2_b32 v[53:54], v56 offset0:108 offset1:199
	ds_read2_b32 v[64:65], v60 offset0:142 offset1:233
	;; [unrolled: 1-line block ×6, first 2 shown]
	ds_read_b32 v72, v73 offset:5096
	v_lshl_add_u32 v89, v84, 2, v88
	v_add_co_u32 v55, s1, 0x1554, v24
	v_add_co_ci_u32_e64 v56, s1, 0, v25, s1
	v_add_nc_u32_e32 v61, 0x600, v89
	v_add_nc_u32_e32 v114, 0xc00, v89
	v_add_co_u32 v112, s1, 0x1800, v24
	v_add_co_ci_u32_e64 v113, s1, 0, v25, s1
	s_waitcnt lgkmcnt(7)
	v_lshrrev_b32_e32 v115, 16, v62
	s_waitcnt lgkmcnt(6)
	v_lshrrev_b32_e32 v108, 16, v54
	;; [unrolled: 2-line block ×4, first 2 shown]
	v_lshrrev_b32_e32 v119, 16, v65
	v_lshrrev_b32_e32 v121, 16, v67
	s_waitcnt lgkmcnt(2)
	v_lshrrev_b32_e32 v122, 16, v70
	s_waitcnt lgkmcnt(1)
	v_lshrrev_b32_e32 v124, 16, v110
	v_lshrrev_b32_e32 v125, 16, v71
	;; [unrolled: 1-line block ×3, first 2 shown]
	s_waitcnt lgkmcnt(0)
	v_lshrrev_b32_e32 v127, 16, v72
	v_lshrrev_b32_e32 v117, 16, v63
	;; [unrolled: 1-line block ×5, first 2 shown]
	s_waitcnt vmcnt(4)
	v_mul_f16_sdwa v128, v108, v45 dst_sel:DWORD dst_unused:UNUSED_PAD src0_sel:DWORD src1_sel:WORD_1
	v_mul_f16_sdwa v129, v54, v45 dst_sel:DWORD dst_unused:UNUSED_PAD src0_sel:DWORD src1_sel:WORD_1
	v_mul_f16_sdwa v130, v116, v46 dst_sel:DWORD dst_unused:UNUSED_PAD src0_sel:DWORD src1_sel:WORD_1
	v_mul_f16_sdwa v131, v64, v46 dst_sel:DWORD dst_unused:UNUSED_PAD src0_sel:DWORD src1_sel:WORD_1
	s_waitcnt vmcnt(3)
	v_mul_f16_sdwa v132, v118, v43 dst_sel:DWORD dst_unused:UNUSED_PAD src0_sel:DWORD src1_sel:WORD_1
	v_mul_f16_sdwa v133, v66, v43 dst_sel:DWORD dst_unused:UNUSED_PAD src0_sel:DWORD src1_sel:WORD_1
	v_mul_f16_sdwa v134, v119, v44 dst_sel:DWORD dst_unused:UNUSED_PAD src0_sel:DWORD src1_sel:WORD_1
	v_mul_f16_sdwa v135, v65, v44 dst_sel:DWORD dst_unused:UNUSED_PAD src0_sel:DWORD src1_sel:WORD_1
	;; [unrolled: 5-line block ×5, first 2 shown]
	v_fma_f16 v54, v54, v45, -v128
	v_fmac_f16_e32 v129, v108, v45
	v_fma_f16 v64, v64, v46, -v130
	v_fmac_f16_e32 v131, v116, v46
	;; [unrolled: 2-line block ×10, first 2 shown]
	v_add_f16_e32 v111, v62, v54
	v_add_f16_e32 v116, v54, v64
	;; [unrolled: 1-line block ×6, first 2 shown]
	v_sub_f16_e32 v118, v129, v131
	v_add_f16_e32 v122, v63, v66
	v_sub_f16_e32 v125, v133, v135
	v_add_f16_e32 v126, v117, v133
	v_add_f16_e32 v128, v68, v67
	;; [unrolled: 1-line block ×5, first 2 shown]
	v_sub_f16_e32 v54, v54, v64
	v_sub_f16_e32 v66, v66, v65
	v_add_f16_e32 v136, v108, v71
	v_add_f16_e32 v140, v141, v143
	;; [unrolled: 1-line block ×3, first 2 shown]
	v_sub_f16_e32 v144, v145, v147
	v_add_f16_e32 v146, v109, v145
	v_add_f16_e32 v145, v145, v147
	;; [unrolled: 1-line block ×3, first 2 shown]
	v_fma_f16 v62, -0.5, v116, v62
	v_add_f16_e32 v111, v119, v131
	v_fmac_f16_e32 v115, -0.5, v121
	v_fmac_f16_e32 v63, -0.5, v124
	;; [unrolled: 1-line block ×3, first 2 shown]
	v_sub_f16_e32 v130, v137, v139
	v_sub_f16_e32 v67, v67, v70
	v_add_f16_e32 v65, v122, v65
	v_add_f16_e32 v116, v126, v135
	;; [unrolled: 1-line block ×3, first 2 shown]
	v_fma_f16 v68, -0.5, v129, v68
	v_add_f16_e32 v119, v132, v139
	v_fmac_f16_e32 v120, -0.5, v133
	v_add_f16_e32 v134, v69, v108
	v_add_f16_e32 v138, v123, v141
	v_sub_f16_e32 v137, v141, v143
	v_sub_f16_e32 v108, v108, v71
	v_add_f16_e32 v141, v53, v110
	v_sub_f16_e32 v110, v110, v72
	v_fmac_f16_e32 v69, -0.5, v136
	v_fmac_f16_e32 v123, -0.5, v140
	;; [unrolled: 1-line block ×4, first 2 shown]
	v_fmamk_f16 v124, v118, 0x3aee, v62
	v_fmac_f16_e32 v62, 0xbaee, v118
	v_fmamk_f16 v118, v54, 0xbaee, v115
	v_fmamk_f16 v126, v125, 0x3aee, v63
	v_fmac_f16_e32 v63, 0xbaee, v125
	v_fmamk_f16 v125, v66, 0xbaee, v117
	v_pack_b32_f16 v64, v64, v111
	v_fmac_f16_e32 v115, 0x3aee, v54
	v_fmac_f16_e32 v117, 0x3aee, v66
	v_fmamk_f16 v66, v130, 0x3aee, v68
	v_fmamk_f16 v127, v67, 0xbaee, v120
	v_pack_b32_f16 v65, v65, v116
	v_pack_b32_f16 v70, v70, v119
	v_fmac_f16_e32 v68, 0xbaee, v130
	v_fmac_f16_e32 v120, 0x3aee, v67
	v_add_f16_e32 v71, v134, v71
	v_add_f16_e32 v121, v138, v143
	;; [unrolled: 1-line block ×4, first 2 shown]
	v_fmamk_f16 v67, v137, 0x3aee, v69
	v_fmac_f16_e32 v69, 0xbaee, v137
	v_fmamk_f16 v128, v108, 0xbaee, v123
	v_fmac_f16_e32 v123, 0x3aee, v108
	;; [unrolled: 2-line block ×4, first 2 shown]
	ds_write_b32 v73, v64
	v_pack_b32_f16 v64, v124, v118
	v_pack_b32_f16 v110, v126, v125
	;; [unrolled: 1-line block ×4, first 2 shown]
	ds_write2_b32 v89, v65, v70 offset0:91 offset1:182
	v_pack_b32_f16 v65, v66, v127
	v_pack_b32_f16 v66, v68, v120
	;; [unrolled: 1-line block ×8, first 2 shown]
	ds_write2_b32 v61, v64, v110 offset0:71 offset1:162
	ds_write2_b32 v114, v62, v63 offset0:142 offset1:233
	ds_write_b32 v73, v65 offset:2548
	ds_write_b32 v73, v66 offset:4368
	ds_write_b32 v89, v71 offset:1092
	ds_write_b32 v73, v67 offset:2912
	ds_write_b32 v73, v68 offset:4732
	ds_write_b32 v89, v72 offset:1456
	ds_write_b32 v73, v69 offset:3276
	ds_write_b32 v73, v70 offset:5096
	v_add_co_u32 v62, s1, 0x2000, v24
	v_add_co_ci_u32_e64 v63, s1, 0, v25, s1
	v_add_co_u32 v64, s1, 0x2800, v24
	s_waitcnt lgkmcnt(0)
	s_barrier
	buffer_gl0_inv
	s_clause 0x3
	global_load_dword v72, v[20:21], off offset:1364
	global_load_dword v114, v[55:56], off offset:420
	;; [unrolled: 1-line block ×4, first 2 shown]
	v_add_co_ci_u32_e64 v65, s1, 0, v25, s1
	s_clause 0x8
	global_load_dword v117, v[55:56], off offset:1680
	global_load_dword v118, v[112:113], off offset:1416
	;; [unrolled: 1-line block ×9, first 2 shown]
	v_add_nc_u32_e32 v63, 0x600, v73
	ds_read2_b32 v[64:65], v73 offset1:105
	ds_read2_b32 v[66:67], v59 offset0:82 offset1:187
	ds_read2_b32 v[68:69], v63 offset0:36 offset1:141
	;; [unrolled: 1-line block ×5, first 2 shown]
	ds_read_b32 v125, v73 offset:5040
	s_waitcnt lgkmcnt(6)
	v_lshrrev_b32_e32 v126, 16, v64
	v_lshrrev_b32_e32 v127, 16, v65
	s_waitcnt lgkmcnt(5)
	v_lshrrev_b32_e32 v128, 16, v66
	v_lshrrev_b32_e32 v129, 16, v67
	s_waitcnt lgkmcnt(4)
	v_lshrrev_b32_e32 v130, 16, v68
	v_lshrrev_b32_e32 v131, 16, v69
	s_waitcnt lgkmcnt(3)
	v_lshrrev_b32_e32 v132, 16, v70
	v_lshrrev_b32_e32 v133, 16, v71
	s_waitcnt lgkmcnt(2)
	v_lshrrev_b32_e32 v134, 16, v110
	v_lshrrev_b32_e32 v135, 16, v111
	s_waitcnt lgkmcnt(1)
	v_lshrrev_b32_e32 v136, 16, v112
	v_lshrrev_b32_e32 v137, 16, v113
	s_waitcnt lgkmcnt(0)
	v_lshrrev_b32_e32 v138, 16, v125
	s_waitcnt vmcnt(12)
	v_mul_f16_sdwa v139, v126, v72 dst_sel:DWORD dst_unused:UNUSED_PAD src0_sel:DWORD src1_sel:WORD_1
	v_mul_f16_sdwa v140, v64, v72 dst_sel:DWORD dst_unused:UNUSED_PAD src0_sel:DWORD src1_sel:WORD_1
	s_waitcnt vmcnt(11)
	v_mul_f16_sdwa v141, v127, v114 dst_sel:DWORD dst_unused:UNUSED_PAD src0_sel:DWORD src1_sel:WORD_1
	v_mul_f16_sdwa v142, v65, v114 dst_sel:DWORD dst_unused:UNUSED_PAD src0_sel:DWORD src1_sel:WORD_1
	;; [unrolled: 3-line block ×13, first 2 shown]
	v_fma_f16 v64, v64, v72, -v139
	v_fmac_f16_e32 v140, v126, v72
	v_fma_f16 v65, v65, v114, -v141
	v_fmac_f16_e32 v142, v127, v114
	;; [unrolled: 2-line block ×13, first 2 shown]
	v_pack_b32_f16 v64, v64, v140
	v_pack_b32_f16 v65, v65, v142
	;; [unrolled: 1-line block ×13, first 2 shown]
	ds_write2_b32 v73, v64, v65 offset1:105
	ds_write2_b32 v59, v66, v67 offset0:82 offset1:187
	ds_write2_b32 v63, v68, v69 offset0:36 offset1:141
	;; [unrolled: 1-line block ×5, first 2 shown]
	ds_write_b32 v73, v62 offset:5040
	s_and_saveexec_b32 s2, vcc_lo
	s_cbranch_execz .LBB0_13
; %bb.12:
	v_add_co_u32 v64, s1, 0x800, v55
	s_clause 0x4
	global_load_dword v62, v[55:56], off offset:364
	global_load_dword v72, v[55:56], off offset:784
	;; [unrolled: 1-line block ×5, first 2 shown]
	v_add_co_ci_u32_e64 v65, s1, 0, v56, s1
	v_add_co_u32 v55, s1, 0x1000, v55
	s_clause 0x1
	global_load_dword v115, v[64:65], off offset:416
	global_load_dword v116, v[64:65], off offset:836
	v_add_co_ci_u32_e64 v56, s1, 0, v56, s1
	s_clause 0x5
	global_load_dword v117, v[64:65], off offset:1256
	global_load_dword v118, v[64:65], off offset:1676
	global_load_dword v119, v[55:56], off offset:48
	global_load_dword v120, v[55:56], off offset:468
	global_load_dword v121, v[55:56], off offset:888
	global_load_dword v122, v[55:56], off offset:1308
	v_add_nc_u32_e32 v123, 0x400, v89
	ds_read2_b32 v[55:56], v89 offset0:91 offset1:196
	ds_read2_b32 v[64:65], v61 offset0:127 offset1:232
	ds_read_b32 v126, v89 offset:5404
	ds_read2_b32 v[66:67], v123 offset0:45 offset1:150
	v_add_nc_u32_e32 v124, 0xa00, v89
	v_add_nc_u32_e32 v125, 0xe00, v89
	;; [unrolled: 1-line block ×3, first 2 shown]
	ds_read2_b32 v[68:69], v124 offset0:81 offset1:186
	ds_read2_b32 v[70:71], v125 offset0:35 offset1:140
	;; [unrolled: 1-line block ×3, first 2 shown]
	s_waitcnt lgkmcnt(6)
	v_lshrrev_b32_e32 v128, 16, v55
	v_lshrrev_b32_e32 v129, 16, v56
	s_waitcnt lgkmcnt(5)
	v_lshrrev_b32_e32 v130, 16, v64
	s_waitcnt lgkmcnt(3)
	v_lshrrev_b32_e32 v133, 16, v66
	v_lshrrev_b32_e32 v134, 16, v67
	;; [unrolled: 1-line block ×4, first 2 shown]
	s_waitcnt lgkmcnt(2)
	v_lshrrev_b32_e32 v135, 16, v68
	v_lshrrev_b32_e32 v136, 16, v69
	s_waitcnt lgkmcnt(1)
	v_lshrrev_b32_e32 v137, 16, v70
	v_lshrrev_b32_e32 v138, 16, v71
	;; [unrolled: 3-line block ×3, first 2 shown]
	s_waitcnt vmcnt(12)
	v_mul_f16_sdwa v141, v128, v62 dst_sel:DWORD dst_unused:UNUSED_PAD src0_sel:DWORD src1_sel:WORD_1
	v_mul_f16_sdwa v142, v55, v62 dst_sel:DWORD dst_unused:UNUSED_PAD src0_sel:DWORD src1_sel:WORD_1
	s_waitcnt vmcnt(11)
	v_mul_f16_sdwa v143, v129, v72 dst_sel:DWORD dst_unused:UNUSED_PAD src0_sel:DWORD src1_sel:WORD_1
	v_mul_f16_sdwa v144, v56, v72 dst_sel:DWORD dst_unused:UNUSED_PAD src0_sel:DWORD src1_sel:WORD_1
	s_waitcnt vmcnt(10)
	v_mul_f16_sdwa v145, v133, v112 dst_sel:DWORD dst_unused:UNUSED_PAD src0_sel:DWORD src1_sel:WORD_1
	s_waitcnt vmcnt(9)
	v_mul_f16_sdwa v147, v134, v113 dst_sel:DWORD dst_unused:UNUSED_PAD src0_sel:DWORD src1_sel:WORD_1
	v_mul_f16_sdwa v146, v66, v112 dst_sel:DWORD dst_unused:UNUSED_PAD src0_sel:DWORD src1_sel:WORD_1
	;; [unrolled: 1-line block ×3, first 2 shown]
	s_waitcnt vmcnt(8)
	v_mul_f16_sdwa v149, v130, v114 dst_sel:DWORD dst_unused:UNUSED_PAD src0_sel:DWORD src1_sel:WORD_1
	v_mul_f16_sdwa v150, v64, v114 dst_sel:DWORD dst_unused:UNUSED_PAD src0_sel:DWORD src1_sel:WORD_1
	v_fma_f16 v55, v55, v62, -v141
	v_fmac_f16_e32 v142, v128, v62
	v_fma_f16 v56, v56, v72, -v143
	v_fmac_f16_e32 v144, v129, v72
	v_fma_f16 v62, v66, v112, -v145
	v_fma_f16 v66, v67, v113, -v147
	s_waitcnt vmcnt(7)
	v_mul_f16_sdwa v67, v131, v115 dst_sel:DWORD dst_unused:UNUSED_PAD src0_sel:DWORD src1_sel:WORD_1
	v_mul_f16_sdwa v72, v65, v115 dst_sel:DWORD dst_unused:UNUSED_PAD src0_sel:DWORD src1_sel:WORD_1
	v_fmac_f16_e32 v146, v133, v112
	v_fmac_f16_e32 v148, v134, v113
	v_fma_f16 v64, v64, v114, -v149
	v_fmac_f16_e32 v150, v130, v114
	s_waitcnt vmcnt(6)
	v_mul_f16_sdwa v112, v135, v116 dst_sel:DWORD dst_unused:UNUSED_PAD src0_sel:DWORD src1_sel:WORD_1
	v_mul_f16_sdwa v113, v68, v116 dst_sel:DWORD dst_unused:UNUSED_PAD src0_sel:DWORD src1_sel:WORD_1
	s_waitcnt vmcnt(5)
	v_mul_f16_sdwa v114, v136, v117 dst_sel:DWORD dst_unused:UNUSED_PAD src0_sel:DWORD src1_sel:WORD_1
	v_mul_f16_sdwa v128, v69, v117 dst_sel:DWORD dst_unused:UNUSED_PAD src0_sel:DWORD src1_sel:WORD_1
	;; [unrolled: 3-line block ×7, first 2 shown]
	v_pack_b32_f16 v55, v55, v142
	v_pack_b32_f16 v56, v56, v144
	v_fma_f16 v65, v65, v115, -v67
	v_fmac_f16_e32 v72, v131, v115
	v_pack_b32_f16 v62, v62, v146
	v_pack_b32_f16 v66, v66, v148
	v_fma_f16 v67, v68, v116, -v112
	v_fmac_f16_e32 v113, v135, v116
	v_fma_f16 v68, v69, v117, -v114
	v_fmac_f16_e32 v128, v136, v117
	;; [unrolled: 2-line block ×7, first 2 shown]
	v_pack_b32_f16 v64, v64, v150
	ds_write2_b32 v89, v55, v56 offset0:91 offset1:196
	ds_write2_b32 v123, v62, v66 offset0:45 offset1:150
	v_pack_b32_f16 v55, v65, v72
	v_pack_b32_f16 v56, v67, v113
	;; [unrolled: 1-line block ×8, first 2 shown]
	ds_write2_b32 v61, v64, v55 offset0:127 offset1:232
	ds_write2_b32 v124, v56, v62 offset0:81 offset1:186
	;; [unrolled: 1-line block ×4, first 2 shown]
	ds_write_b32 v89, v69 offset:5404
.LBB0_13:
	s_or_b32 exec_lo, exec_lo, s2
	s_waitcnt lgkmcnt(0)
	s_barrier
	buffer_gl0_inv
	ds_read2_b32 v[61:62], v73 offset1:105
	ds_read2_b32 v[69:70], v59 offset0:82 offset1:187
	ds_read2_b32 v[65:66], v63 offset0:36 offset1:141
	;; [unrolled: 1-line block ×5, first 2 shown]
	ds_read_b32 v190, v73 offset:5040
	s_and_saveexec_b32 s1, vcc_lo
	s_cbranch_execz .LBB0_15
; %bb.14:
	v_add_nc_u32_e32 v27, 0x400, v89
	v_add_nc_u32_e32 v28, 0x600, v89
	;; [unrolled: 1-line block ×3, first 2 shown]
	ds_read2_b32 v[54:55], v89 offset0:91 offset1:196
	ds_read_b32 v90, v89 offset:5404
	ds_read2_b32 v[51:52], v27 offset0:45 offset1:150
	v_add_nc_u32_e32 v27, 0xe00, v89
	ds_read2_b32 v[49:50], v28 offset0:127 offset1:232
	v_add_nc_u32_e32 v28, 0x1000, v89
	ds_read2_b32 v[47:48], v29 offset0:81 offset1:186
	ds_read2_b32 v[29:30], v27 offset0:35 offset1:140
	;; [unrolled: 1-line block ×3, first 2 shown]
	s_waitcnt lgkmcnt(6)
	v_lshrrev_b32_e32 v108, 16, v54
	v_lshrrev_b32_e32 v109, 16, v55
	s_waitcnt lgkmcnt(5)
	v_lshrrev_b32_e32 v91, 16, v90
	s_waitcnt lgkmcnt(4)
	v_lshrrev_b32_e32 v107, 16, v51
	v_lshrrev_b32_e32 v106, 16, v52
	s_waitcnt lgkmcnt(3)
	v_lshrrev_b32_e32 v105, 16, v49
	;; [unrolled: 3-line block ×5, first 2 shown]
	v_lshrrev_b32_e32 v92, 16, v28
	v_mov_b32_e32 v53, v55
.LBB0_15:
	s_or_b32 exec_lo, exec_lo, s1
	v_sub_f16_e32 v55, v109, v91
	v_sub_f16_e32 v56, v53, v90
	v_add_f16_e32 v150, v91, v109
	v_add_f16_e32 v149, v90, v53
	v_sub_f16_e32 v127, v107, v92
	v_mul_f16_e32 v118, 0xb770, v55
	v_mul_f16_e32 v119, 0xb770, v56
	v_sub_f16_e32 v128, v51, v28
	v_mul_f16_e32 v124, 0xbbc4, v150
	v_mul_f16_e32 v120, 0xba95, v55
	;; [unrolled: 1-line block ×4, first 2 shown]
	v_fmamk_f16 v58, v149, 0x3b15, v118
	v_mul_f16_e32 v126, 0xbbf1, v56
	v_fma_f16 v59, v150, 0x3b15, -v119
	v_mul_f16_e32 v132, 0xbb7b, v55
	v_add_f16_e32 v159, v28, v51
	v_add_f16_e32 v160, v92, v107
	v_mul_f16_e32 v121, 0xba95, v127
	v_mul_f16_e32 v122, 0xba95, v128
	v_fmamk_f16 v129, v56, 0x33a8, v124
	v_fmac_f16_e32 v124, 0xb3a8, v56
	v_fmamk_f16 v60, v149, 0x388b, v120
	v_fma_f16 v110, v150, 0x388b, -v123
	v_add_f16_e32 v58, v54, v58
	v_fmamk_f16 v111, v149, 0x2fb7, v125
	v_fma_f16 v112, v150, 0x2fb7, -v126
	v_add_f16_e32 v59, v108, v59
	v_mul_f16_e32 v134, 0xbb7b, v56
	v_mul_f16_e32 v142, 0xb94e, v56
	v_fmamk_f16 v113, v149, 0xb5ac, v132
	v_fmamk_f16 v56, v159, 0x388b, v121
	v_fma_f16 v130, v160, 0x388b, -v122
	v_add_f16_e32 v136, v108, v129
	v_add_f16_e32 v137, v108, v124
	v_mul_f16_e32 v124, 0xbb7b, v127
	v_mul_f16_e32 v129, 0xbb7b, v128
	;; [unrolled: 1-line block ×5, first 2 shown]
	v_add_f16_e32 v60, v54, v60
	v_add_f16_e32 v110, v108, v110
	;; [unrolled: 1-line block ×4, first 2 shown]
	v_mul_f16_e32 v135, 0xb94e, v55
	v_mul_f16_e32 v55, 0xb3a8, v55
	v_add_f16_e32 v113, v54, v113
	v_add_f16_e32 v56, v56, v58
	;; [unrolled: 1-line block ×3, first 2 shown]
	v_fmamk_f16 v59, v159, 0xb5ac, v124
	v_fma_f16 v130, v160, 0xb5ac, -v129
	v_fmamk_f16 v139, v159, 0xbbc4, v131
	v_fma_f16 v140, v160, 0xbbc4, -v133
	v_fmamk_f16 v141, v159, 0xb9fd, v138
	v_fmamk_f16 v117, v149, 0xbbc4, v55
	v_add_f16_e32 v59, v59, v60
	v_add_f16_e32 v60, v130, v110
	v_add_f16_e32 v110, v139, v111
	v_add_f16_e32 v111, v140, v112
	v_add_f16_e32 v112, v141, v113
	v_mul_f16_e32 v113, 0x3770, v127
	v_mul_f16_e32 v139, 0x3b15, v160
	v_fma_f16 v114, v150, 0xb5ac, -v134
	v_add_f16_e32 v117, v54, v117
	v_mul_f16_e32 v144, 0x394e, v128
	v_fmamk_f16 v141, v159, 0x3b15, v113
	v_fmamk_f16 v143, v128, 0xb770, v139
	;; [unrolled: 1-line block ×3, first 2 shown]
	v_add_f16_e32 v114, v108, v114
	v_fma_f16 v55, v149, 0xbbc4, -v55
	v_mul_f16_e32 v145, 0x3bf1, v127
	v_fma_f16 v127, v160, 0xb9fd, -v144
	v_add_f16_e32 v117, v141, v117
	v_add_f16_e32 v141, v143, v136
	v_sub_f16_e32 v136, v106, v93
	v_sub_f16_e32 v146, v52, v27
	v_fma_f16 v116, v150, 0xb9fd, -v142
	v_add_f16_e32 v115, v54, v115
	v_add_f16_e32 v55, v54, v55
	v_mul_f16_e32 v155, 0x3bf1, v128
	v_fmamk_f16 v130, v159, 0x2fb7, v145
	v_add_f16_e32 v114, v127, v114
	v_fma_f16 v113, v159, 0x3b15, -v113
	v_fmac_f16_e32 v139, 0x3770, v128
	v_add_f16_e32 v170, v27, v52
	v_mul_f16_e32 v127, 0xbbf1, v136
	v_add_f16_e32 v171, v93, v106
	v_mul_f16_e32 v128, 0xbbf1, v146
	v_add_f16_e32 v116, v108, v116
	v_fma_f16 v140, v160, 0x2fb7, -v155
	v_add_f16_e32 v115, v130, v115
	v_add_f16_e32 v55, v113, v55
	v_mul_f16_e32 v130, 0xb3a8, v136
	v_fmamk_f16 v113, v170, 0x2fb7, v127
	v_add_f16_e32 v139, v139, v137
	v_fma_f16 v143, v171, 0x2fb7, -v128
	v_mul_f16_e32 v137, 0xb3a8, v146
	v_add_f16_e32 v116, v140, v116
	v_fmamk_f16 v147, v170, 0xbbc4, v130
	v_add_f16_e32 v56, v113, v56
	v_mul_f16_e32 v140, 0x3b7b, v136
	v_add_f16_e32 v58, v143, v58
	v_fma_f16 v113, v171, 0xbbc4, -v137
	v_mul_f16_e32 v143, 0x3b7b, v146
	v_add_f16_e32 v59, v147, v59
	v_fmamk_f16 v147, v170, 0xb5ac, v140
	v_mul_f16_e32 v152, 0x3770, v136
	v_add_f16_e32 v60, v113, v60
	v_mul_f16_e32 v156, 0x3770, v146
	v_fma_f16 v113, v171, 0xb5ac, -v143
	v_mul_f16_e32 v157, 0xba95, v136
	v_add_f16_e32 v110, v147, v110
	v_fmamk_f16 v147, v170, 0x3b15, v152
	v_fma_f16 v148, v171, 0x3b15, -v156
	v_add_f16_e32 v111, v113, v111
	v_mul_f16_e32 v167, 0xba95, v146
	v_fmamk_f16 v113, v170, 0x388b, v157
	v_add_f16_e32 v112, v147, v112
	v_add_f16_e32 v114, v148, v114
	v_mul_f16_e32 v147, 0xb94e, v136
	v_fma_f16 v136, v171, 0x388b, -v167
	v_mul_f16_e32 v148, 0xb9fd, v171
	v_add_f16_e32 v113, v113, v115
	v_sub_f16_e32 v115, v105, v94
	v_add_f16_e32 v176, v30, v49
	v_add_f16_e32 v116, v136, v116
	v_fmamk_f16 v153, v146, 0x394e, v148
	v_fmac_f16_e32 v148, 0xb94e, v146
	v_mul_f16_e32 v136, 0xbb7b, v115
	v_sub_f16_e32 v158, v49, v30
	v_fmamk_f16 v151, v170, 0xb9fd, v147
	v_add_f16_e32 v153, v153, v141
	v_add_f16_e32 v161, v148, v139
	v_fmamk_f16 v141, v176, 0xb5ac, v136
	v_add_f16_e32 v180, v94, v105
	v_mul_f16_e32 v148, 0x394e, v158
	v_add_f16_e32 v117, v151, v117
	v_fma_f16 v147, v170, 0xb9fd, -v147
	v_add_f16_e32 v56, v141, v56
	v_mul_f16_e32 v141, 0x394e, v115
	v_mul_f16_e32 v151, 0x3770, v115
	;; [unrolled: 1-line block ×3, first 2 shown]
	v_fma_f16 v162, v180, 0xb9fd, -v148
	v_mul_f16_e32 v169, 0x33a8, v115
	v_add_f16_e32 v55, v147, v55
	v_mul_f16_e32 v139, 0xbb7b, v158
	v_fmamk_f16 v147, v176, 0xb9fd, v141
	v_fmamk_f16 v163, v176, 0x3b15, v151
	v_fma_f16 v164, v180, 0x3b15, -v154
	v_add_f16_e32 v60, v162, v60
	v_mul_f16_e32 v165, 0xbbf1, v115
	v_mul_f16_e32 v168, 0xbbf1, v158
	v_mul_f16_e32 v175, 0x33a8, v158
	v_mul_f16_e32 v115, 0x3a95, v115
	v_fmamk_f16 v162, v176, 0xbbc4, v169
	v_fma_f16 v146, v180, 0xb5ac, -v139
	v_add_f16_e32 v59, v147, v59
	v_add_f16_e32 v110, v163, v110
	;; [unrolled: 1-line block ×3, first 2 shown]
	v_fma_f16 v147, v180, 0x2fb7, -v168
	v_fma_f16 v163, v180, 0xbbc4, -v175
	v_fmamk_f16 v164, v176, 0x388b, v115
	v_add_f16_e32 v113, v162, v113
	v_sub_f16_e32 v172, v50, v29
	v_mul_f16_e32 v162, 0x388b, v180
	v_add_f16_e32 v58, v146, v58
	v_fmamk_f16 v146, v176, 0x2fb7, v165
	v_add_f16_e32 v114, v147, v114
	v_add_f16_e32 v116, v163, v116
	;; [unrolled: 1-line block ×3, first 2 shown]
	v_sub_f16_e32 v163, v104, v95
	v_add_f16_e32 v182, v95, v104
	v_mul_f16_e32 v147, 0xb94e, v172
	v_fmamk_f16 v164, v158, 0xba95, v162
	v_fma_f16 v115, v176, 0x388b, -v115
	v_fmac_f16_e32 v162, 0x3a95, v158
	v_add_f16_e32 v112, v146, v112
	v_add_f16_e32 v181, v29, v50
	v_mul_f16_e32 v146, 0xb94e, v163
	v_fma_f16 v166, v182, 0xb9fd, -v147
	v_add_f16_e32 v174, v164, v153
	v_add_f16_e32 v55, v115, v55
	;; [unrolled: 1-line block ×3, first 2 shown]
	v_mul_f16_e32 v162, 0x3bf1, v172
	v_mul_f16_e32 v164, 0xba95, v163
	;; [unrolled: 1-line block ×3, first 2 shown]
	v_fmamk_f16 v158, v181, 0xb9fd, v146
	v_add_f16_e32 v58, v166, v58
	v_mul_f16_e32 v153, 0x3bf1, v163
	v_mul_f16_e32 v166, 0xba95, v172
	v_fma_f16 v161, v182, 0x2fb7, -v162
	v_fmamk_f16 v177, v181, 0x388b, v164
	v_fmamk_f16 v179, v181, 0xbbc4, v173
	v_mul_f16_e32 v183, 0x3770, v172
	v_add_f16_e32 v56, v158, v56
	v_fmamk_f16 v158, v181, 0x2fb7, v153
	v_fma_f16 v178, v182, 0x388b, -v166
	v_add_f16_e32 v60, v161, v60
	v_add_f16_e32 v188, v177, v110
	v_add_f16_e32 v191, v179, v112
	v_mul_f16_e32 v179, 0x3770, v163
	v_mul_f16_e32 v110, 0xbb7b, v163
	v_fma_f16 v161, v182, 0x3b15, -v183
	v_sub_f16_e32 v195, v47, v48
	v_add_f16_e32 v59, v158, v59
	v_add_f16_e32 v189, v178, v111
	v_mul_f16_e32 v178, 0x33a8, v172
	v_mul_f16_e32 v111, 0xb5ac, v182
	v_fmamk_f16 v158, v181, 0x3b15, v179
	v_fmamk_f16 v163, v181, 0xb5ac, v110
	v_add_f16_e32 v116, v161, v116
	v_sub_f16_e32 v194, v103, v102
	v_fma_f16 v110, v181, 0xb5ac, -v110
	v_add_f16_e32 v187, v102, v103
	v_mul_f16_e32 v161, 0xb3a8, v195
	s_waitcnt lgkmcnt(6)
	v_pk_add_f16 v57, v61, v62
	v_fma_f16 v112, v182, 0xbbc4, -v178
	v_fmamk_f16 v177, v172, 0x3b7b, v111
	v_add_f16_e32 v192, v158, v113
	v_add_f16_e32 v117, v163, v117
	;; [unrolled: 1-line block ×3, first 2 shown]
	v_mul_f16_e32 v158, 0xb3a8, v194
	v_add_f16_e32 v196, v110, v55
	v_mul_f16_e32 v163, 0x3770, v194
	v_fmac_f16_e32 v111, 0xbb7b, v172
	v_fma_f16 v110, v187, 0xbbc4, -v161
	v_mul_f16_e32 v172, 0x3770, v195
	v_add_f16_e32 v114, v112, v114
	v_add_f16_e32 v193, v177, v174
	v_fmamk_f16 v55, v185, 0xbbc4, v158
	v_fmamk_f16 v112, v185, 0x3b15, v163
	v_add_f16_e32 v110, v110, v58
	v_fma_f16 v58, v187, 0x3b15, -v172
	v_mul_f16_e32 v177, 0xb94e, v195
	s_waitcnt lgkmcnt(5)
	v_pk_add_f16 v57, v57, v69
	v_add_f16_e32 v197, v111, v115
	v_add_f16_e32 v55, v55, v56
	v_add_f16_e32 v56, v112, v59
	v_add_f16_e32 v111, v58, v60
	v_fma_f16 v59, v187, 0xb9fd, -v177
	v_pk_add_f16 v60, v57, v70
	v_mul_f16_e32 v174, 0xb94e, v194
	v_mul_f16_e32 v184, 0x3a95, v194
	;; [unrolled: 1-line block ×3, first 2 shown]
	v_add_f16_e32 v112, v59, v189
	s_waitcnt lgkmcnt(4)
	v_pk_add_f16 v59, v60, v65
	v_fmamk_f16 v58, v185, 0xb9fd, v174
	v_fmamk_f16 v113, v185, 0x388b, v184
	v_fma_f16 v60, v187, 0x388b, -v186
	v_mul_f16_e32 v189, 0xbb7b, v195
	v_pk_add_f16 v59, v59, v66
	v_add_f16_e32 v57, v58, v188
	v_add_f16_e32 v58, v113, v191
	;; [unrolled: 1-line block ×3, first 2 shown]
	v_fma_f16 v114, v187, 0xb5ac, -v189
	s_waitcnt lgkmcnt(3)
	v_pk_add_f16 v191, v59, v63
	v_mul_f16_e32 v188, 0xbb7b, v194
	v_mul_f16_e32 v115, 0x3bf1, v194
	;; [unrolled: 1-line block ×3, first 2 shown]
	v_add_f16_e32 v114, v114, v116
	v_pk_add_f16 v116, v191, v64
	v_fmamk_f16 v60, v185, 0xb5ac, v188
	v_fmamk_f16 v198, v185, 0x2fb7, v115
	;; [unrolled: 1-line block ×3, first 2 shown]
	v_fmac_f16_e32 v194, 0x3bf1, v195
	s_waitcnt lgkmcnt(2)
	v_pk_add_f16 v195, v116, v67
	v_add_f16_e32 v59, v60, v192
	v_add_f16_e32 v60, v198, v117
	v_fma_f16 v117, v185, 0x2fb7, -v115
	v_add_f16_e32 v115, v191, v193
	s_waitcnt lgkmcnt(0)
	v_pk_add_f16 v192, v62, v190 neg_lo:[0,1] neg_hi:[0,1]
	v_pk_add_f16 v191, v195, v68
	v_pk_add_f16 v193, v190, v62
	v_add_f16_e32 v116, v117, v196
	v_add_f16_e32 v117, v194, v197
	v_pk_mul_f16 v194, 0xb770, v192 op_sel_hi:[0,1]
	v_pk_add_f16 v196, v191, v71
	v_pk_add_f16 v217, v69, v72 neg_lo:[0,1] neg_hi:[0,1]
	v_mov_b32_e32 v197, 0x388b
	v_pk_add_f16 v220, v72, v69
	v_pk_fma_f16 v62, 0x3b15, v193, v194 op_sel:[0,0,1] op_sel_hi:[0,1,0]
	v_pk_fma_f16 v191, 0x3b15, v193, v194 op_sel:[0,0,1] op_sel_hi:[0,1,0] neg_lo:[0,0,1] neg_hi:[0,0,1]
	v_pk_add_f16 v196, v196, v72
	v_pk_mul_f16 v72, 0xba95, v217 op_sel_hi:[0,1]
	v_mov_b32_e32 v195, 0xba95
	v_mul_f16_sdwa v201, v193, v197 dst_sel:DWORD dst_unused:UNUSED_PAD src0_sel:WORD_1 src1_sel:DWORD
	v_bfi_b32 v198, 0xffff, v62, v191
	v_mov_b32_e32 v207, 0xb5ac
	v_pk_fma_f16 v69, 0x388b, v220, v72 op_sel:[0,0,1] op_sel_hi:[0,1,0]
	v_pk_fma_f16 v72, 0x388b, v220, v72 op_sel:[0,0,1] op_sel_hi:[0,1,0] neg_lo:[0,0,1] neg_hi:[0,0,1]
	v_mul_f16_sdwa v194, v192, v195 dst_sel:DWORD dst_unused:UNUSED_PAD src0_sel:WORD_1 src1_sel:DWORD
	v_pk_add_f16 v190, v196, v190
	v_pk_add_f16 v196, v61, v198
	v_fmamk_f16 v202, v192, 0x3a95, v201
	v_mov_b32_e32 v203, 0x2fb7
	v_mov_b32_e32 v206, 0xbb7b
	v_mul_f16_sdwa v222, v220, v207 dst_sel:DWORD dst_unused:UNUSED_PAD src0_sel:WORD_1 src1_sel:DWORD
	v_bfi_b32 v223, 0xffff, v69, v72
	v_fmamk_f16 v199, v193, 0x388b, v194
	v_mov_b32_e32 v200, 0xbbf1
	v_fma_f16 v194, v193, 0x388b, -v194
	v_fmac_f16_e32 v201, 0xba95, v192
	v_add_f16_sdwa v202, v61, v202 dst_sel:DWORD dst_unused:UNUSED_PAD src0_sel:WORD_1 src1_sel:DWORD
	v_mul_f16_sdwa v205, v193, v203 dst_sel:DWORD dst_unused:UNUSED_PAD src0_sel:WORD_1 src1_sel:DWORD
	v_mul_f16_sdwa v221, v217, v206 dst_sel:DWORD dst_unused:UNUSED_PAD src0_sel:WORD_1 src1_sel:DWORD
	v_fmamk_f16 v226, v217, 0x3b7b, v222
	v_pk_add_f16 v196, v223, v196
	v_mov_b32_e32 v223, 0xbbc4
	v_add_f16_e32 v198, v61, v199
	v_mul_f16_sdwa v199, v192, v200 dst_sel:DWORD dst_unused:UNUSED_PAD src0_sel:WORD_1 src1_sel:DWORD
	v_add_f16_e32 v194, v61, v194
	v_add_f16_sdwa v201, v61, v201 dst_sel:DWORD dst_unused:UNUSED_PAD src0_sel:WORD_1 src1_sel:DWORD
	v_fmamk_f16 v208, v192, 0x3bf1, v205
	v_mul_f16_sdwa v209, v192, v206 dst_sel:DWORD dst_unused:UNUSED_PAD src0_sel:WORD_1 src1_sel:DWORD
	v_fmamk_f16 v224, v220, 0xb5ac, v221
	v_mov_b32_e32 v225, 0xb3a8
	v_add_f16_e32 v202, v226, v202
	v_fma_f16 v221, v220, 0xb5ac, -v221
	v_fmac_f16_e32 v222, 0xbb7b, v217
	v_mul_f16_sdwa v226, v220, v223 dst_sel:DWORD dst_unused:UNUSED_PAD src0_sel:WORD_1 src1_sel:DWORD
	v_mov_b32_e32 v228, 0x394e
	v_fmamk_f16 v204, v193, 0x2fb7, v199
	v_add_f16_sdwa v208, v61, v208 dst_sel:DWORD dst_unused:UNUSED_PAD src0_sel:WORD_1 src1_sel:DWORD
	v_fmamk_f16 v211, v193, 0xb5ac, v209
	v_add_f16_e32 v198, v224, v198
	v_mul_f16_sdwa v224, v217, v225 dst_sel:DWORD dst_unused:UNUSED_PAD src0_sel:WORD_1 src1_sel:DWORD
	v_add_f16_e32 v194, v221, v194
	v_add_f16_e32 v201, v222, v201
	v_fmamk_f16 v221, v217, 0x33a8, v226
	v_mul_f16_sdwa v222, v217, v228 dst_sel:DWORD dst_unused:UNUSED_PAD src0_sel:WORD_1 src1_sel:DWORD
	v_add_f16_e32 v204, v61, v204
	v_fma_f16 v199, v193, 0x2fb7, -v199
	v_mul_f16_sdwa v210, v193, v207 dst_sel:DWORD dst_unused:UNUSED_PAD src0_sel:WORD_1 src1_sel:DWORD
	v_mov_b32_e32 v213, 0xb94e
	v_mov_b32_e32 v214, 0xb9fd
	v_fma_f16 v209, v193, 0xb5ac, -v209
	v_add_f16_e32 v211, v61, v211
	v_fmamk_f16 v227, v220, 0xbbc4, v224
	v_add_f16_e32 v208, v221, v208
	v_fmamk_f16 v221, v220, 0xb9fd, v222
	v_fmac_f16_e32 v205, 0xbbf1, v192
	v_add_f16_e32 v199, v61, v199
	v_fmamk_f16 v212, v192, 0x3b7b, v210
	v_mul_f16_sdwa v215, v192, v213 dst_sel:DWORD dst_unused:UNUSED_PAD src0_sel:WORD_1 src1_sel:DWORD
	v_add_f16_e32 v209, v61, v209
	v_add_f16_e32 v204, v227, v204
	v_fma_f16 v224, v220, 0xbbc4, -v224
	v_mul_f16_sdwa v227, v220, v214 dst_sel:DWORD dst_unused:UNUSED_PAD src0_sel:WORD_1 src1_sel:DWORD
	v_mov_b32_e32 v229, 0x3bf1
	v_add_f16_e32 v211, v221, v211
	v_fma_f16 v221, v220, 0xb9fd, -v222
	v_add_f16_sdwa v205, v61, v205 dst_sel:DWORD dst_unused:UNUSED_PAD src0_sel:WORD_1 src1_sel:DWORD
	v_add_f16_sdwa v212, v61, v212 dst_sel:DWORD dst_unused:UNUSED_PAD src0_sel:WORD_1 src1_sel:DWORD
	v_mul_f16_sdwa v216, v193, v214 dst_sel:DWORD dst_unused:UNUSED_PAD src0_sel:WORD_1 src1_sel:DWORD
	v_fmac_f16_e32 v210, 0xbb7b, v192
	v_fmamk_f16 v218, v193, 0xb9fd, v215
	v_fma_f16 v215, v193, 0xb9fd, -v215
	v_fmac_f16_e32 v226, 0xb3a8, v217
	v_add_f16_e32 v199, v224, v199
	v_fmamk_f16 v224, v217, 0xb94e, v227
	v_mul_f16_sdwa v222, v217, v229 dst_sel:DWORD dst_unused:UNUSED_PAD src0_sel:WORD_1 src1_sel:DWORD
	v_add_f16_e32 v209, v221, v209
	v_pk_add_f16 v221, v70, v71 neg_lo:[0,1] neg_hi:[0,1]
	v_fmamk_f16 v219, v192, 0x394e, v216
	v_add_f16_sdwa v210, v61, v210 dst_sel:DWORD dst_unused:UNUSED_PAD src0_sel:WORD_1 src1_sel:DWORD
	v_add_f16_e32 v218, v61, v218
	v_fmac_f16_e32 v216, 0xb94e, v192
	v_add_f16_e32 v215, v61, v215
	v_add_f16_e32 v205, v226, v205
	;; [unrolled: 1-line block ×3, first 2 shown]
	v_fmac_f16_e32 v227, 0x394e, v217
	v_mul_f16_sdwa v224, v220, v203 dst_sel:DWORD dst_unused:UNUSED_PAD src0_sel:WORD_1 src1_sel:DWORD
	v_fmamk_f16 v226, v220, 0x2fb7, v222
	v_pk_add_f16 v70, v71, v70
	v_pk_mul_f16 v71, 0xbbf1, v221 op_sel_hi:[0,1]
	v_fma_f16 v222, v220, 0x2fb7, -v222
	v_add_f16_sdwa v219, v61, v219 dst_sel:DWORD dst_unused:UNUSED_PAD src0_sel:WORD_1 src1_sel:DWORD
	v_add_f16_sdwa v216, v61, v216 dst_sel:DWORD dst_unused:UNUSED_PAD src0_sel:WORD_1 src1_sel:DWORD
	v_add_f16_e32 v210, v227, v210
	v_fmamk_f16 v227, v217, 0xbbf1, v224
	v_add_f16_e32 v218, v226, v218
	v_fmac_f16_e32 v224, 0x3bf1, v217
	v_pk_fma_f16 v226, 0x2fb7, v70, v71 op_sel:[0,0,1] op_sel_hi:[0,1,0]
	v_pk_fma_f16 v71, 0x2fb7, v70, v71 op_sel:[0,0,1] op_sel_hi:[0,1,0] neg_lo:[0,0,1] neg_hi:[0,0,1]
	v_add_f16_e32 v215, v222, v215
	v_mul_f16_sdwa v222, v221, v225 dst_sel:DWORD dst_unused:UNUSED_PAD src0_sel:WORD_1 src1_sel:DWORD
	v_mul_f16_sdwa v225, v70, v223 dst_sel:DWORD dst_unused:UNUSED_PAD src0_sel:WORD_1 src1_sel:DWORD
	v_add_f16_e32 v219, v227, v219
	v_add_f16_e32 v216, v224, v216
	v_bfi_b32 v224, 0xffff, v226, v71
	v_mov_b32_e32 v227, 0x3b7b
	v_fmamk_f16 v230, v70, 0xbbc4, v222
	v_fmamk_f16 v231, v221, 0x33a8, v225
	v_fma_f16 v222, v70, 0xbbc4, -v222
	v_pk_add_f16 v196, v224, v196
	v_mul_f16_sdwa v224, v221, v227 dst_sel:DWORD dst_unused:UNUSED_PAD src0_sel:WORD_1 src1_sel:DWORD
	v_add_f16_e32 v198, v230, v198
	v_add_f16_e32 v202, v231, v202
	v_fmac_f16_e32 v225, 0xb3a8, v221
	v_mul_f16_sdwa v230, v70, v207 dst_sel:DWORD dst_unused:UNUSED_PAD src0_sel:WORD_1 src1_sel:DWORD
	v_mov_b32_e32 v231, 0x3b15
	v_add_f16_e32 v194, v222, v194
	v_fmamk_f16 v222, v70, 0xb5ac, v224
	v_mov_b32_e32 v227, 0x3770
	v_add_f16_e32 v201, v225, v201
	v_fmamk_f16 v225, v221, 0xbb7b, v230
	v_mul_f16_sdwa v232, v70, v231 dst_sel:DWORD dst_unused:UNUSED_PAD src0_sel:WORD_1 src1_sel:DWORD
	v_add_f16_e32 v204, v222, v204
	v_mul_f16_sdwa v222, v221, v227 dst_sel:DWORD dst_unused:UNUSED_PAD src0_sel:WORD_1 src1_sel:DWORD
	v_fma_f16 v224, v70, 0xb5ac, -v224
	v_add_f16_e32 v208, v225, v208
	v_fmamk_f16 v225, v221, 0xb770, v232
	v_fmac_f16_e32 v230, 0x3b7b, v221
	v_fmamk_f16 v233, v70, 0x3b15, v222
	v_add_f16_e32 v199, v224, v199
	v_mul_f16_sdwa v224, v221, v195 dst_sel:DWORD dst_unused:UNUSED_PAD src0_sel:WORD_1 src1_sel:DWORD
	v_add_f16_e32 v212, v225, v212
	v_pk_add_f16 v225, v65, v68 neg_lo:[0,1] neg_hi:[0,1]
	v_add_f16_e32 v205, v230, v205
	v_add_f16_e32 v211, v233, v211
	v_fma_f16 v222, v70, 0x3b15, -v222
	v_fmamk_f16 v230, v70, 0x388b, v224
	v_mul_f16_sdwa v233, v70, v197 dst_sel:DWORD dst_unused:UNUSED_PAD src0_sel:WORD_1 src1_sel:DWORD
	v_pk_add_f16 v65, v68, v65
	v_pk_mul_f16 v68, 0xbb7b, v225 op_sel_hi:[0,1]
	v_fmac_f16_e32 v232, 0x3770, v221
	v_add_f16_e32 v209, v222, v209
	v_add_f16_e32 v218, v230, v218
	v_fmamk_f16 v222, v221, 0x3a95, v233
	v_pk_fma_f16 v230, 0xb5ac, v65, v68 op_sel:[0,0,1] op_sel_hi:[0,1,0]
	v_pk_fma_f16 v68, 0xb5ac, v65, v68 op_sel:[0,0,1] op_sel_hi:[0,1,0] neg_lo:[0,0,1] neg_hi:[0,0,1]
	v_mul_f16_sdwa v228, v225, v228 dst_sel:DWORD dst_unused:UNUSED_PAD src0_sel:WORD_1 src1_sel:DWORD
	v_fma_f16 v224, v70, 0x388b, -v224
	v_add_f16_e32 v210, v232, v210
	v_add_f16_e32 v219, v222, v219
	v_bfi_b32 v222, 0xffff, v230, v68
	v_fmamk_f16 v232, v65, 0xb9fd, v228
	v_add_f16_e32 v215, v224, v215
	v_mul_f16_sdwa v224, v65, v214 dst_sel:DWORD dst_unused:UNUSED_PAD src0_sel:WORD_1 src1_sel:DWORD
	v_fmac_f16_e32 v233, 0xba95, v221
	v_pk_add_f16 v196, v222, v196
	v_add_f16_e32 v198, v232, v198
	v_mul_f16_sdwa v222, v225, v227 dst_sel:DWORD dst_unused:UNUSED_PAD src0_sel:WORD_1 src1_sel:DWORD
	v_fmamk_f16 v232, v225, 0xb94e, v224
	v_fmac_f16_e32 v224, 0x394e, v225
	v_add_f16_e32 v216, v233, v216
	v_mul_f16_sdwa v233, v65, v231 dst_sel:DWORD dst_unused:UNUSED_PAD src0_sel:WORD_1 src1_sel:DWORD
	v_fma_f16 v228, v65, 0xb9fd, -v228
	v_fmamk_f16 v234, v65, 0x3b15, v222
	v_add_f16_e32 v201, v224, v201
	v_mul_f16_sdwa v200, v225, v200 dst_sel:DWORD dst_unused:UNUSED_PAD src0_sel:WORD_1 src1_sel:DWORD
	v_mul_f16_sdwa v224, v65, v203 dst_sel:DWORD dst_unused:UNUSED_PAD src0_sel:WORD_1 src1_sel:DWORD
	v_add_f16_e32 v202, v232, v202
	v_fmamk_f16 v232, v225, 0xb770, v233
	v_add_f16_e32 v194, v228, v194
	v_add_f16_e32 v204, v234, v204
	v_fmamk_f16 v228, v65, 0x2fb7, v200
	v_fmamk_f16 v234, v225, 0x3bf1, v224
	v_add_f16_e32 v208, v232, v208
	v_fma_f16 v222, v65, 0x3b15, -v222
	v_mov_b32_e32 v232, 0x33a8
	v_add_f16_e32 v211, v228, v211
	v_add_f16_e32 v212, v234, v212
	v_fma_f16 v200, v65, 0x2fb7, -v200
	v_pk_add_f16 v228, v66, v67 neg_lo:[0,1] neg_hi:[0,1]
	v_fmac_f16_e32 v224, 0xbbf1, v225
	v_mul_f16_sdwa v234, v65, v223 dst_sel:DWORD dst_unused:UNUSED_PAD src0_sel:WORD_1 src1_sel:DWORD
	v_fmac_f16_e32 v233, 0x3770, v225
	v_add_f16_e32 v199, v222, v199
	v_mul_f16_sdwa v222, v225, v232 dst_sel:DWORD dst_unused:UNUSED_PAD src0_sel:WORD_1 src1_sel:DWORD
	v_pk_add_f16 v66, v67, v66
	v_pk_mul_f16 v67, 0xb94e, v228 op_sel_hi:[0,1]
	v_add_f16_e32 v200, v200, v209
	v_add_f16_e32 v209, v224, v210
	v_fmamk_f16 v210, v225, 0xb3a8, v234
	v_add_f16_e32 v205, v233, v205
	v_fmamk_f16 v233, v65, 0xbbc4, v222
	v_pk_fma_f16 v224, 0xb9fd, v66, v67 op_sel:[0,0,1] op_sel_hi:[0,1,0]
	v_pk_fma_f16 v67, 0xb9fd, v66, v67 op_sel:[0,0,1] op_sel_hi:[0,1,0] neg_lo:[0,0,1] neg_hi:[0,0,1]
	v_fma_f16 v222, v65, 0xbbc4, -v222
	v_add_f16_e32 v210, v210, v219
	v_mul_f16_sdwa v219, v228, v229 dst_sel:DWORD dst_unused:UNUSED_PAD src0_sel:WORD_1 src1_sel:DWORD
	v_mul_f16_sdwa v203, v66, v203 dst_sel:DWORD dst_unused:UNUSED_PAD src0_sel:WORD_1 src1_sel:DWORD
	v_bfi_b32 v229, 0xffff, v224, v67
	v_add_f16_e32 v215, v222, v215
	v_mul_f16_sdwa v195, v228, v195 dst_sel:DWORD dst_unused:UNUSED_PAD src0_sel:WORD_1 src1_sel:DWORD
	v_fmamk_f16 v222, v66, 0x2fb7, v219
	v_fma_f16 v219, v66, 0x2fb7, -v219
	v_pk_add_f16 v196, v229, v196
	v_fmamk_f16 v229, v228, 0xbbf1, v203
	v_fmac_f16_e32 v203, 0x3bf1, v228
	v_add_f16_e32 v198, v222, v198
	v_fmamk_f16 v222, v66, 0x388b, v195
	v_add_f16_e32 v194, v219, v194
	v_mul_f16_sdwa v219, v66, v197 dst_sel:DWORD dst_unused:UNUSED_PAD src0_sel:WORD_1 src1_sel:DWORD
	v_add_f16_e32 v201, v203, v201
	v_add_f16_e32 v202, v229, v202
	;; [unrolled: 1-line block ×3, first 2 shown]
	v_mul_f16_sdwa v204, v228, v232 dst_sel:DWORD dst_unused:UNUSED_PAD src0_sel:WORD_1 src1_sel:DWORD
	v_mul_f16_sdwa v222, v66, v223 dst_sel:DWORD dst_unused:UNUSED_PAD src0_sel:WORD_1 src1_sel:DWORD
	v_fmamk_f16 v223, v228, 0x3a95, v219
	v_fma_f16 v195, v66, 0x388b, -v195
	v_fmac_f16_e32 v219, 0xba95, v228
	v_fmamk_f16 v229, v66, 0xbbc4, v204
	v_fmamk_f16 v232, v228, 0xb3a8, v222
	v_add_f16_e32 v208, v223, v208
	v_add_f16_e32 v195, v195, v199
	;; [unrolled: 1-line block ×5, first 2 shown]
	v_mul_f16_sdwa v212, v228, v227 dst_sel:DWORD dst_unused:UNUSED_PAD src0_sel:WORD_1 src1_sel:DWORD
	v_fma_f16 v204, v66, 0xbbc4, -v204
	v_pk_add_f16 v223, v63, v64 neg_lo:[0,1] neg_hi:[0,1]
	v_fmac_f16_e32 v222, 0x33a8, v228
	v_pk_add_f16 v63, v64, v63
	v_fmamk_f16 v229, v66, 0x3b15, v212
	v_add_f16_e32 v200, v204, v200
	v_fma_f16 v212, v66, 0x3b15, -v212
	v_add_f16_e32 v204, v222, v209
	v_mul_f16_sdwa v222, v223, v227 dst_sel:DWORD dst_unused:UNUSED_PAD src0_sel:WORD_1 src1_sel:DWORD
	v_mul_f16_sdwa v227, v63, v231 dst_sel:DWORD dst_unused:UNUSED_PAD src0_sel:WORD_1 src1_sel:DWORD
	v_add_f16_e32 v218, v233, v218
	v_pk_mul_f16 v64, 0xb3a8, v223 op_sel_hi:[0,1]
	v_add_f16_e32 v212, v212, v215
	v_mul_f16_sdwa v213, v223, v213 dst_sel:DWORD dst_unused:UNUSED_PAD src0_sel:WORD_1 src1_sel:DWORD
	v_fmamk_f16 v215, v223, 0xb770, v227
	v_fmac_f16_e32 v234, 0x33a8, v225
	v_mul_f16_sdwa v219, v66, v231 dst_sel:DWORD dst_unused:UNUSED_PAD src0_sel:WORD_1 src1_sel:DWORD
	v_add_f16_e32 v209, v229, v218
	v_pk_fma_f16 v218, 0xbbc4, v63, v64 op_sel:[0,0,1] op_sel_hi:[0,1,0]
	v_pk_fma_f16 v64, 0xbbc4, v63, v64 op_sel:[0,0,1] op_sel_hi:[0,1,0] neg_lo:[0,0,1] neg_hi:[0,0,1]
	v_fmamk_f16 v231, v63, 0x3b15, v222
	v_add_f16_e32 v202, v215, v202
	v_fma_f16 v215, v63, 0x3b15, -v222
	v_fmamk_f16 v222, v63, 0xb9fd, v213
	v_fma_f16 v213, v63, 0xb9fd, -v213
	v_mul_f16_sdwa v197, v63, v197 dst_sel:DWORD dst_unused:UNUSED_PAD src0_sel:WORD_1 src1_sel:DWORD
	v_add_f16_e32 v216, v234, v216
	v_fmamk_f16 v232, v228, 0xb770, v219
	v_fmac_f16_e32 v219, 0x3770, v228
	v_bfi_b32 v229, 0xffff, v218, v64
	v_add_f16_e32 v195, v213, v195
	v_fmamk_f16 v213, v223, 0xba95, v197
	v_fmac_f16_e32 v197, 0x3a95, v223
	v_mul_f16_sdwa v206, v223, v206 dst_sel:DWORD dst_unused:UNUSED_PAD src0_sel:WORD_1 src1_sel:DWORD
	v_mul_f16_sdwa v207, v63, v207 dst_sel:DWORD dst_unused:UNUSED_PAD src0_sel:WORD_1 src1_sel:DWORD
	v_add_f16_e32 v210, v232, v210
	v_add_f16_e32 v216, v219, v216
	v_pk_add_f16 v196, v229, v196
	v_mov_b32_e32 v219, 0x3a95
	v_mul_f16_sdwa v214, v63, v214 dst_sel:DWORD dst_unused:UNUSED_PAD src0_sel:WORD_1 src1_sel:DWORD
	v_add_f16_e32 v211, v213, v211
	v_add_f16_e32 v197, v197, v204
	v_fmamk_f16 v204, v63, 0xb5ac, v206
	v_fmamk_f16 v213, v223, 0x3b7b, v207
	v_pk_mul_f16 v193, 0xbbc4, v193 op_sel_hi:[0,1]
	s_barrier
	buffer_gl0_inv
	v_add_f16_e32 v198, v231, v198
	v_add_f16_e32 v194, v215, v194
	v_mul_f16_sdwa v215, v223, v219 dst_sel:DWORD dst_unused:UNUSED_PAD src0_sel:WORD_1 src1_sel:DWORD
	v_fmamk_f16 v219, v223, 0x394e, v214
	v_add_f16_e32 v204, v204, v209
	v_add_f16_e32 v209, v213, v210
	v_pk_fma_f16 v210, 0xb3a8, v192, v193 op_sel:[0,0,1] op_sel_hi:[0,1,0]
	ds_write2_b32 v101, v190, v196 offset1:1
	v_pk_mul_f16 v190, 0x3b15, v220 op_sel_hi:[0,1]
	v_add_f16_e32 v203, v222, v203
	v_add_f16_e32 v208, v219, v208
	v_fma_f16 v206, v63, 0xb5ac, -v206
	v_alignbit_b32 v196, s0, v210, 16
	v_pack_b32_f16 v198, v198, v202
	v_pk_fma_f16 v192, 0xb3a8, v192, v193 op_sel:[0,0,1] op_sel_hi:[0,1,0] neg_lo:[0,1,0] neg_hi:[0,1,0]
	v_pk_fma_f16 v193, 0x3770, v217, v190 op_sel:[0,0,1] op_sel_hi:[0,1,0]
	v_pk_mul_f16 v70, 0xb9fd, v70 op_sel_hi:[0,1]
	v_alignbit_b32 v202, s0, v61, 16
	v_add_f16_e32 v206, v206, v212
	v_pack_b32_f16 v203, v203, v208
	v_pk_add_f16 v196, v61, v196
	v_pk_add_f16 v192, v61, v192 op_sel:[1,0] op_sel_hi:[0,1]
	v_alignbit_b32 v208, s0, v193, 16
	v_pk_fma_f16 v190, 0x3770, v217, v190 op_sel:[0,0,1] op_sel_hi:[0,1,0] neg_lo:[0,1,0] neg_hi:[0,1,0]
	v_pk_fma_f16 v212, 0xb94e, v221, v70 op_sel:[0,0,1] op_sel_hi:[0,1,0]
	v_pk_add_f16 v202, v202, v210
	v_pk_mul_f16 v65, 0x388b, v65 op_sel_hi:[0,1]
	v_bfi_b32 v62, 0xffff, v191, v62
	v_fmac_f16_e32 v214, 0xb94e, v223
	v_pk_add_f16 v196, v208, v196
	v_pk_add_f16 v190, v190, v192
	v_alignbit_b32 v192, s0, v212, 16
	v_pk_fma_f16 v70, 0xb94e, v221, v70 op_sel:[0,0,1] op_sel_hi:[0,1,0] neg_lo:[0,1,0] neg_hi:[0,1,0]
	v_pk_fma_f16 v208, 0x3a95, v225, v65 op_sel:[0,0,1] op_sel_hi:[0,1,0]
	v_pk_add_f16 v193, v193, v202
	v_pk_mul_f16 v66, 0xb5ac, v66 op_sel_hi:[0,1]
	v_pk_add_f16 v61, v61, v62
	v_bfi_b32 v62, 0xffff, v72, v69
	v_fmamk_f16 v222, v63, 0x388b, v215
	v_add_f16_e32 v199, v214, v199
	v_fma_f16 v214, v63, 0x388b, -v215
	v_pk_add_f16 v192, v192, v196
	v_pk_add_f16 v70, v70, v190
	v_alignbit_b32 v190, s0, v208, 16
	v_pk_fma_f16 v65, 0x3a95, v225, v65 op_sel:[0,0,1] op_sel_hi:[0,1,0] neg_lo:[0,1,0] neg_hi:[0,1,0]
	v_pk_fma_f16 v196, 0xbb7b, v228, v66 op_sel:[0,0,1] op_sel_hi:[0,1,0]
	v_pk_add_f16 v193, v212, v193
	v_pk_mul_f16 v63, 0x2fb7, v63 op_sel_hi:[0,1]
	v_pk_add_f16 v61, v62, v61
	v_bfi_b32 v62, 0xffff, v71, v226
	v_pk_add_f16 v190, v190, v192
	v_pk_add_f16 v65, v65, v70
	v_alignbit_b32 v70, s0, v196, 16
	v_pk_add_f16 v69, v208, v193
	v_pk_fma_f16 v66, 0xbb7b, v228, v66 op_sel:[0,0,1] op_sel_hi:[0,1,0] neg_lo:[0,1,0] neg_hi:[0,1,0]
	v_pk_fma_f16 v72, 0x3bf1, v223, v63 op_sel:[0,0,1] op_sel_hi:[0,1,0]
	v_pk_add_f16 v61, v62, v61
	v_bfi_b32 v62, 0xffff, v68, v230
	v_pk_add_f16 v70, v70, v190
	v_pk_add_f16 v65, v66, v65
	;; [unrolled: 1-line block ×3, first 2 shown]
	v_alignbit_b32 v69, s0, v72, 16
	v_pk_fma_f16 v63, 0x3bf1, v223, v63 op_sel:[0,0,1] op_sel_hi:[0,1,0] neg_lo:[0,1,0] neg_hi:[0,1,0]
	v_fmac_f16_e32 v207, 0xbb7b, v223
	v_fmac_f16_e32 v227, 0x3770, v223
	v_pk_add_f16 v61, v62, v61
	v_bfi_b32 v62, 0xffff, v67, v224
	v_add_f16_e32 v205, v222, v205
	v_pk_add_f16 v68, v69, v70
	v_pk_add_f16 v63, v63, v65
	v_pk_add_f16 v65, v72, v66
	v_add_f16_e32 v200, v214, v200
	v_add_f16_e32 v207, v207, v216
	;; [unrolled: 1-line block ×3, first 2 shown]
	v_pk_add_f16 v61, v62, v61
	v_bfi_b32 v62, 0xffff, v64, v218
	v_pack_b32_f16 v66, v204, v209
	v_pack_b32_f16 v67, v205, v211
	v_alignbit_b32 v65, v65, v63, 16
	v_pack_b32_f16 v63, v68, v63
	v_pack_b32_f16 v64, v200, v197
	;; [unrolled: 1-line block ×5, first 2 shown]
	v_pk_add_f16 v61, v62, v61
	ds_write2_b32 v101, v198, v203 offset0:2 offset1:3
	ds_write2_b32 v101, v67, v66 offset0:4 offset1:5
	;; [unrolled: 1-line block ×5, first 2 shown]
	ds_write_b32 v101, v61 offset:48
	s_and_saveexec_b32 s1, vcc_lo
	s_cbranch_execz .LBB0_17
; %bb.16:
	v_add_f16_e32 v53, v53, v54
	v_add_f16_e32 v109, v109, v108
	v_mul_f16_e32 v70, 0xb9fd, v150
	v_mul_f16_e32 v61, 0x3b15, v149
	v_mul_f16_e32 v63, 0x388b, v149
	v_add_f16_e32 v51, v51, v53
	v_add_f16_e32 v53, v107, v109
	v_mul_f16_e32 v65, 0x2fb7, v149
	v_mul_f16_e32 v67, 0xb5ac, v149
	v_mul_f16_e32 v69, 0xb9fd, v149
	;; [unrolled: 5-line block ×5, first 2 shown]
	v_add_f16_e32 v47, v47, v49
	v_add_f16_e32 v49, v103, v50
	;; [unrolled: 1-line block ×3, first 2 shown]
	v_mul_f16_e32 v171, 0x388b, v171
	v_mul_f16_e32 v109, 0xbbc4, v180
	v_add_f16_e32 v47, v48, v47
	v_add_f16_e32 v48, v102, v49
	;; [unrolled: 1-line block ×4, first 2 shown]
	v_mul_f16_e32 v201, 0xb5ac, v176
	v_add_f16_e32 v29, v29, v47
	v_add_f16_e32 v47, v95, v48
	v_mul_f16_e32 v203, 0xb9fd, v176
	v_add_f16_e32 v48, v50, v49
	v_add_f16_e32 v49, v167, v171
	v_mul_f16_e32 v205, 0x3b15, v176
	v_mul_f16_e32 v207, 0x2fb7, v176
	;; [unrolled: 1-line block ×9, first 2 shown]
	v_add_f16_e32 v29, v30, v29
	v_add_f16_e32 v30, v94, v47
	;; [unrolled: 1-line block ×4, first 2 shown]
	v_mul_f16_e32 v62, 0x3b15, v150
	v_add_f16_e32 v27, v27, v29
	v_add_f16_e32 v29, v93, v30
	v_mul_f16_e32 v64, 0x388b, v150
	v_add_f16_e32 v30, v48, v47
	v_add_f16_e32 v47, v183, v181
	v_mul_f16_e32 v48, 0xb5ac, v187
	v_mul_f16_e32 v66, 0x2fb7, v150
	;; [unrolled: 1-line block ×8, first 2 shown]
	v_add_f16_e32 v30, v47, v30
	v_add_f16_e32 v47, v189, v48
	v_sub_f16_e32 v48, v69, v135
	v_mul_f16_e32 v193, 0x2fb7, v170
	v_mul_f16_e32 v195, 0xbbc4, v170
	;; [unrolled: 1-line block ×5, first 2 shown]
	v_add_f16_e32 v27, v28, v27
	v_add_f16_e32 v68, v134, v68
	;; [unrolled: 1-line block ×3, first 2 shown]
	v_sub_f16_e32 v47, v67, v132
	v_add_f16_e32 v48, v54, v48
	v_sub_f16_e32 v67, v159, v145
	v_add_f16_e32 v27, v90, v27
	v_add_f16_e32 v68, v108, v68
	;; [unrolled: 1-line block ×4, first 2 shown]
	v_sub_f16_e32 v90, v191, v138
	v_add_f16_e32 v48, v67, v48
	v_sub_f16_e32 v67, v170, v157
	v_mul_f16_e32 v208, 0x2fb7, v180
	v_add_f16_e32 v68, v69, v68
	v_add_f16_e32 v69, v156, v200
	;; [unrolled: 1-line block ×3, first 2 shown]
	v_sub_f16_e32 v90, v199, v152
	v_add_f16_e32 v48, v67, v48
	v_sub_f16_e32 v67, v107, v169
	v_mul_f16_e32 v28, 0xb5ac, v185
	v_add_f16_e32 v68, v69, v68
	v_add_f16_e32 v69, v168, v208
	;; [unrolled: 1-line block ×3, first 2 shown]
	v_sub_f16_e32 v90, v207, v165
	v_add_f16_e32 v48, v67, v48
	v_sub_f16_e32 v67, v104, v179
	v_mul_f16_e32 v49, 0x388b, v185
	v_add_f16_e32 v68, v69, v68
	v_add_f16_e32 v47, v90, v47
	v_sub_f16_e32 v69, v209, v173
	v_add_f16_e32 v48, v67, v48
	v_sub_f16_e32 v28, v28, v188
	v_sub_f16_e32 v65, v65, v125
	v_sub_f16_e32 v49, v49, v184
	v_add_f16_e32 v47, v69, v47
	v_mul_f16_e32 v206, 0x3b15, v180
	v_add_f16_e32 v28, v28, v48
	v_add_f16_e32 v48, v126, v66
	;; [unrolled: 1-line block ×3, first 2 shown]
	v_sub_f16_e32 v66, v150, v131
	v_add_f16_e32 v47, v49, v47
	v_add_f16_e32 v49, v123, v64
	;; [unrolled: 1-line block ×5, first 2 shown]
	v_sub_f16_e32 v66, v197, v140
	v_mul_f16_e32 v51, 0xbbc4, v182
	v_mul_f16_e32 v105, 0x388b, v182
	v_add_f16_e32 v48, v64, v48
	v_add_f16_e32 v64, v143, v198
	;; [unrolled: 1-line block ×3, first 2 shown]
	v_sub_f16_e32 v66, v205, v151
	v_mul_f16_e32 v50, 0xb9fd, v185
	v_sub_f16_e32 v52, v52, v164
	v_add_f16_e32 v48, v64, v48
	v_add_f16_e32 v64, v154, v206
	;; [unrolled: 1-line block ×3, first 2 shown]
	v_mul_f16_e32 v94, 0x388b, v187
	v_add_f16_e32 v51, v178, v51
	v_mul_f16_e32 v95, 0xb9fd, v187
	v_add_f16_e32 v48, v64, v48
	v_add_f16_e32 v64, v166, v105
	;; [unrolled: 1-line block ×3, first 2 shown]
	v_sub_f16_e32 v50, v50, v174
	v_add_f16_e32 v51, v51, v68
	v_add_f16_e32 v67, v186, v94
	v_sub_f16_e32 v63, v63, v120
	v_add_f16_e32 v48, v64, v48
	v_add_f16_e32 v64, v177, v95
	v_add_f16_e32 v50, v50, v52
	v_add_f16_e32 v52, v119, v62
	v_sub_f16_e32 v61, v61, v118
	v_add_f16_e32 v51, v67, v51
	v_add_f16_e32 v49, v108, v49
	;; [unrolled: 5-line block ×3, first 2 shown]
	v_add_f16_e32 v64, v122, v72
	v_add_f16_e32 v54, v54, v61
	v_sub_f16_e32 v61, v71, v121
	v_mul_f16_e32 v204, 0xb9fd, v180
	v_add_f16_e32 v49, v67, v49
	v_add_f16_e32 v67, v137, v196
	v_add_f16_e32 v62, v63, v62
	v_sub_f16_e32 v63, v195, v130
	v_mul_f16_e32 v202, 0xb5ac, v180
	v_add_f16_e32 v52, v64, v52
	v_add_f16_e32 v64, v128, v194
	v_add_f16_e32 v54, v61, v54
	v_sub_f16_e32 v61, v193, v127
	v_mul_f16_e32 v180, 0x2fb7, v182
	v_add_f16_e32 v49, v67, v49
	v_add_f16_e32 v67, v148, v204
	v_add_f16_e32 v62, v63, v62
	v_sub_f16_e32 v63, v203, v141
	v_mul_f16_e32 v53, 0xb9fd, v182
	v_add_f16_e32 v52, v64, v52
	v_add_f16_e32 v64, v139, v202
	v_add_f16_e32 v54, v61, v54
	v_sub_f16_e32 v61, v201, v136
	v_mul_f16_e32 v142, 0x3b15, v187
	v_add_f16_e32 v29, v92, v29
	v_add_f16_e32 v49, v67, v49
	v_add_f16_e32 v66, v162, v180
	v_mul_f16_e32 v102, 0x3b15, v185
	v_add_f16_e32 v62, v63, v62
	v_sub_f16_e32 v63, v106, v153
	v_mul_f16_e32 v70, 0xbbc4, v185
	v_mul_f16_e32 v103, 0xbbc4, v187
	v_add_f16_e32 v52, v64, v52
	v_add_f16_e32 v53, v147, v53
	;; [unrolled: 1-line block ×3, first 2 shown]
	v_sub_f16_e32 v61, v176, v146
	v_add_f16_e32 v29, v91, v29
	v_add_f16_e32 v49, v66, v49
	;; [unrolled: 1-line block ×4, first 2 shown]
	v_sub_f16_e32 v63, v102, v163
	v_add_f16_e32 v52, v53, v52
	v_add_f16_e32 v53, v161, v103
	;; [unrolled: 1-line block ×3, first 2 shown]
	v_sub_f16_e32 v61, v70, v158
	v_add_f16_e32 v49, v65, v49
	v_lshl_add_u32 v64, v97, 2, v88
	v_perm_b32 v65, v110, v55, 0x5040100
	v_pack_b32_f16 v27, v27, v29
	v_perm_b32 v29, v112, v57, 0x5040100
	v_perm_b32 v66, v111, v56, 0x5040100
	v_add_f16_e32 v62, v63, v62
	v_add_f16_e32 v52, v53, v52
	v_add_f16_e32 v53, v61, v54
	ds_write2_b32 v64, v27, v65 offset1:1
	ds_write2_b32 v64, v66, v29 offset0:2 offset1:3
	v_perm_b32 v27, v114, v59, 0x5040100
	v_perm_b32 v29, v113, v58, 0x5040100
	;; [unrolled: 1-line block ×4, first 2 shown]
	v_pack_b32_f16 v47, v47, v51
	v_pack_b32_f16 v28, v28, v30
	;; [unrolled: 1-line block ×5, first 2 shown]
	ds_write2_b32 v64, v29, v27 offset0:4 offset1:5
	ds_write2_b32 v64, v61, v54 offset0:6 offset1:7
	;; [unrolled: 1-line block ×4, first 2 shown]
	ds_write_b32 v64, v49 offset:48
.LBB0_17:
	s_or_b32 exec_lo, exec_lo, s1
	v_add_nc_u32_e32 v29, 0x400, v73
	v_add_nc_u32_e32 v63, 0x200, v73
	;; [unrolled: 1-line block ×6, first 2 shown]
	s_waitcnt lgkmcnt(0)
	s_barrier
	buffer_gl0_inv
	ds_read2_b32 v[27:28], v73 offset1:91
	ds_read2_b32 v[49:50], v63 offset0:67 offset1:158
	ds_read2_b32 v[61:62], v29 offset0:134 offset1:225
	;; [unrolled: 1-line block ×6, first 2 shown]
	s_and_saveexec_b32 s1, s0
	s_cbranch_execz .LBB0_19
; %bb.18:
	v_add_nc_u32_e32 v59, 0xf00, v73
	ds_read2_b32 v[55:56], v63 offset0:54 offset1:249
	ds_read2_b32 v[57:58], v64 offset0:60 offset1:255
	;; [unrolled: 1-line block ×3, first 2 shown]
	ds_read_b32 v116, v73 offset:5408
	s_waitcnt lgkmcnt(3)
	v_lshrrev_b32_e32 v110, 16, v55
	v_lshrrev_b32_e32 v111, 16, v56
	s_waitcnt lgkmcnt(2)
	v_lshrrev_b32_e32 v112, 16, v57
	v_lshrrev_b32_e32 v113, 16, v58
	;; [unrolled: 3-line block ×3, first 2 shown]
	s_waitcnt lgkmcnt(0)
	v_lshrrev_b32_e32 v117, 16, v116
.LBB0_19:
	s_or_b32 exec_lo, exec_lo, s1
	s_waitcnt lgkmcnt(5)
	v_lshrrev_b32_e32 v66, 16, v49
	s_waitcnt lgkmcnt(4)
	v_lshrrev_b32_e32 v67, 16, v61
	;; [unrolled: 2-line block ×5, first 2 shown]
	v_mul_f16_sdwa v94, v8, v66 dst_sel:DWORD dst_unused:UNUSED_PAD src0_sel:WORD_1 src1_sel:DWORD
	v_mul_f16_sdwa v95, v8, v49 dst_sel:DWORD dst_unused:UNUSED_PAD src0_sel:WORD_1 src1_sel:DWORD
	;; [unrolled: 1-line block ×4, first 2 shown]
	s_waitcnt lgkmcnt(0)
	v_lshrrev_b32_e32 v71, 16, v29
	v_lshrrev_b32_e32 v72, 16, v50
	v_fmac_f16_e32 v94, v8, v49
	v_fma_f16 v8, v8, v66, -v95
	v_fmac_f16_e32 v97, v9, v61
	v_fma_f16 v9, v9, v67, -v101
	v_mul_f16_sdwa v49, v10, v68 dst_sel:DWORD dst_unused:UNUSED_PAD src0_sel:WORD_1 src1_sel:DWORD
	v_mul_f16_sdwa v61, v10, v53 dst_sel:DWORD dst_unused:UNUSED_PAD src0_sel:WORD_1 src1_sel:DWORD
	;; [unrolled: 1-line block ×5, first 2 shown]
	v_lshrrev_b32_e32 v90, 16, v62
	v_lshrrev_b32_e32 v91, 16, v54
	;; [unrolled: 1-line block ×3, first 2 shown]
	v_fmac_f16_e32 v49, v10, v53
	v_fma_f16 v10, v10, v68, -v61
	v_fmac_f16_e32 v66, v11, v51
	v_fma_f16 v11, v11, v69, -v67
	v_fmac_f16_e32 v95, v35, v47
	v_mul_f16_sdwa v47, v35, v47 dst_sel:DWORD dst_unused:UNUSED_PAD src0_sel:WORD_1 src1_sel:DWORD
	v_mul_f16_sdwa v51, v36, v71 dst_sel:DWORD dst_unused:UNUSED_PAD src0_sel:WORD_1 src1_sel:DWORD
	;; [unrolled: 1-line block ×5, first 2 shown]
	v_lshrrev_b32_e32 v93, 16, v48
	v_lshrrev_b32_e32 v102, 16, v30
	v_fma_f16 v35, v35, v70, -v47
	v_fmac_f16_e32 v51, v36, v29
	v_fma_f16 v29, v36, v71, -v53
	v_fmac_f16_e32 v61, v4, v50
	v_fma_f16 v4, v4, v72, -v67
	v_mul_f16_sdwa v36, v5, v90 dst_sel:DWORD dst_unused:UNUSED_PAD src0_sel:WORD_1 src1_sel:DWORD
	v_mul_f16_sdwa v47, v5, v62 dst_sel:DWORD dst_unused:UNUSED_PAD src0_sel:WORD_1 src1_sel:DWORD
	;; [unrolled: 1-line block ×5, first 2 shown]
	v_fmac_f16_e32 v36, v5, v62
	v_fma_f16 v5, v5, v90, -v47
	v_fmac_f16_e32 v50, v6, v54
	v_fmac_f16_e32 v67, v7, v52
	v_mul_f16_sdwa v47, v7, v52 dst_sel:DWORD dst_unused:UNUSED_PAD src0_sel:WORD_1 src1_sel:DWORD
	v_mul_f16_sdwa v52, v33, v93 dst_sel:DWORD dst_unused:UNUSED_PAD src0_sel:WORD_1 src1_sel:DWORD
	;; [unrolled: 1-line block ×4, first 2 shown]
	v_fma_f16 v6, v6, v91, -v53
	v_mul_f16_sdwa v53, v33, v48 dst_sel:DWORD dst_unused:UNUSED_PAD src0_sel:WORD_1 src1_sel:DWORD
	v_fma_f16 v7, v7, v92, -v47
	v_fmac_f16_e32 v52, v33, v48
	v_fmac_f16_e32 v54, v34, v30
	v_fma_f16 v30, v34, v102, -v62
	v_add_f16_e32 v34, v94, v51
	v_add_f16_e32 v47, v8, v29
	v_sub_f16_e32 v48, v94, v51
	v_sub_f16_e32 v8, v8, v29
	v_add_f16_e32 v29, v97, v95
	v_add_f16_e32 v51, v9, v35
	v_fma_f16 v33, v33, v93, -v53
	v_sub_f16_e32 v53, v97, v95
	v_sub_f16_e32 v9, v9, v35
	v_add_f16_e32 v35, v49, v66
	v_add_f16_e32 v62, v10, v11
	v_sub_f16_e32 v49, v66, v49
	v_sub_f16_e32 v10, v11, v10
	v_add_f16_e32 v11, v29, v34
	v_add_f16_e32 v66, v51, v47
	v_sub_f16_e32 v68, v29, v34
	v_sub_f16_e32 v69, v51, v47
	;; [unrolled: 1-line block ×6, first 2 shown]
	v_add_f16_e32 v70, v49, v53
	v_add_f16_e32 v71, v10, v9
	v_sub_f16_e32 v72, v49, v53
	v_sub_f16_e32 v90, v10, v9
	;; [unrolled: 1-line block ×3, first 2 shown]
	v_add_f16_e32 v11, v35, v11
	v_add_f16_e32 v35, v62, v66
	v_sub_f16_e32 v9, v9, v8
	v_sub_f16_e32 v49, v48, v49
	;; [unrolled: 1-line block ×3, first 2 shown]
	v_add_f16_e32 v48, v70, v48
	v_add_f16_e32 v8, v71, v8
	;; [unrolled: 1-line block ×3, first 2 shown]
	v_add_f16_sdwa v27, v27, v35 dst_sel:DWORD dst_unused:UNUSED_PAD src0_sel:WORD_1 src1_sel:DWORD
	v_mul_f16_e32 v34, 0x3a52, v34
	v_mul_f16_e32 v47, 0x3a52, v47
	;; [unrolled: 1-line block ×8, first 2 shown]
	v_fmamk_f16 v11, v11, 0xbcab, v62
	v_fmamk_f16 v35, v35, 0xbcab, v27
	;; [unrolled: 1-line block ×4, first 2 shown]
	v_fma_f16 v66, v68, 0x39e0, -v66
	v_fma_f16 v70, v69, 0x39e0, -v70
	;; [unrolled: 1-line block ×4, first 2 shown]
	v_fmamk_f16 v68, v49, 0xb574, v71
	v_fmamk_f16 v69, v10, 0xb574, v72
	v_fma_f16 v49, v49, 0x3574, -v90
	v_fma_f16 v10, v10, 0x3574, -v91
	;; [unrolled: 1-line block ×4, first 2 shown]
	v_add_f16_e32 v29, v29, v11
	v_add_f16_e32 v51, v51, v35
	;; [unrolled: 1-line block ×5, first 2 shown]
	v_fmac_f16_e32 v68, 0xb70e, v48
	v_fmac_f16_e32 v10, 0xb70e, v8
	;; [unrolled: 1-line block ×3, first 2 shown]
	v_add_f16_e32 v70, v70, v35
	v_fmac_f16_e32 v53, 0xb70e, v48
	v_fmac_f16_e32 v9, 0xb70e, v8
	v_sub_f16_e32 v35, v51, v68
	v_add_f16_e32 v47, v10, v11
	v_sub_f16_e32 v48, v34, v49
	v_sub_f16_e32 v10, v11, v10
	v_add_f16_e32 v11, v49, v34
	v_add_f16_e32 v34, v68, v51
	;; [unrolled: 1-line block ×4, first 2 shown]
	v_sub_f16_e32 v54, v61, v54
	v_sub_f16_e32 v4, v4, v30
	v_add_f16_e32 v30, v36, v52
	v_add_f16_e32 v61, v5, v33
	v_fmac_f16_e32 v69, 0xb70e, v8
	v_sub_f16_e32 v71, v66, v9
	v_add_f16_e32 v9, v9, v66
	v_sub_f16_e32 v36, v36, v52
	v_sub_f16_e32 v5, v5, v33
	v_add_f16_e32 v33, v50, v67
	v_add_f16_e32 v52, v6, v7
	v_sub_f16_e32 v50, v67, v50
	v_sub_f16_e32 v6, v7, v6
	v_add_f16_e32 v7, v30, v49
	v_add_f16_e32 v66, v61, v51
	;; [unrolled: 1-line block ×4, first 2 shown]
	v_sub_f16_e32 v53, v70, v53
	v_sub_f16_e32 v29, v29, v69
	v_sub_f16_e32 v67, v30, v49
	v_sub_f16_e32 v68, v61, v51
	v_sub_f16_e32 v49, v49, v33
	v_sub_f16_e32 v51, v51, v52
	v_sub_f16_e32 v30, v33, v30
	v_sub_f16_e32 v61, v52, v61
	v_add_f16_e32 v69, v50, v36
	v_add_f16_e32 v70, v6, v5
	v_sub_f16_e32 v90, v50, v36
	v_sub_f16_e32 v91, v6, v5
	v_add_f16_e32 v7, v33, v7
	v_add_f16_e32 v33, v52, v66
	v_sub_f16_e32 v36, v36, v54
	v_sub_f16_e32 v5, v5, v4
	;; [unrolled: 1-line block ×4, first 2 shown]
	v_add_f16_e32 v52, v69, v54
	v_add_f16_e32 v4, v70, v4
	;; [unrolled: 1-line block ×3, first 2 shown]
	v_add_f16_sdwa v28, v28, v33 dst_sel:DWORD dst_unused:UNUSED_PAD src0_sel:WORD_1 src1_sel:DWORD
	v_mul_f16_e32 v49, 0x3a52, v49
	v_mul_f16_e32 v51, 0x3a52, v51
	;; [unrolled: 1-line block ×8, first 2 shown]
	v_fmamk_f16 v7, v7, 0xbcab, v54
	v_fmamk_f16 v33, v33, 0xbcab, v28
	;; [unrolled: 1-line block ×4, first 2 shown]
	v_fma_f16 v66, v67, 0x39e0, -v66
	v_fma_f16 v69, v68, 0x39e0, -v69
	;; [unrolled: 1-line block ×4, first 2 shown]
	v_fmamk_f16 v67, v50, 0xb574, v70
	v_fmamk_f16 v68, v6, 0xb574, v90
	v_fma_f16 v36, v36, 0xbb00, -v70
	v_fma_f16 v5, v5, 0xbb00, -v90
	;; [unrolled: 1-line block ×4, first 2 shown]
	v_add_f16_e32 v30, v30, v7
	v_add_f16_e32 v61, v61, v33
	v_fmac_f16_e32 v67, 0xb70e, v52
	v_fmac_f16_e32 v68, 0xb70e, v4
	v_add_f16_e32 v66, v66, v7
	v_add_f16_e32 v69, v69, v33
	;; [unrolled: 1-line block ×4, first 2 shown]
	v_fmac_f16_e32 v36, 0xb70e, v52
	v_fmac_f16_e32 v6, 0xb70e, v4
	;; [unrolled: 1-line block ×4, first 2 shown]
	v_pack_b32_f16 v27, v62, v27
	v_pack_b32_f16 v8, v8, v35
	v_add_f16_e32 v4, v68, v30
	v_sub_f16_e32 v49, v61, v67
	v_pack_b32_f16 v35, v47, v48
	v_pack_b32_f16 v47, v71, v72
	v_add_f16_e32 v51, v6, v7
	v_sub_f16_e32 v52, v33, v50
	v_sub_f16_e32 v70, v66, v5
	v_add_f16_e32 v90, v36, v69
	v_pack_b32_f16 v9, v9, v53
	v_pack_b32_f16 v10, v10, v11
	v_add_f16_e32 v5, v5, v66
	v_sub_f16_e32 v36, v69, v36
	v_sub_f16_e32 v6, v7, v6
	v_add_f16_e32 v7, v50, v33
	v_sub_f16_e32 v30, v30, v68
	v_add_f16_e32 v33, v67, v61
	v_add_nc_u32_e32 v65, 0x2d8, v73
	v_add_nc_u32_e32 v64, 0x444, v73
	;; [unrolled: 1-line block ×3, first 2 shown]
	s_barrier
	buffer_gl0_inv
	ds_write2_b32 v99, v27, v8 offset1:13
	ds_write2_b32 v99, v35, v47 offset0:26 offset1:39
	ds_write2_b32 v99, v9, v10 offset0:52 offset1:65
	v_pack_b32_f16 v8, v29, v34
	v_pack_b32_f16 v9, v54, v28
	v_pack_b32_f16 v4, v4, v49
	v_pack_b32_f16 v10, v51, v52
	v_pack_b32_f16 v11, v70, v90
	v_pack_b32_f16 v5, v5, v36
	v_pack_b32_f16 v6, v6, v7
	v_pack_b32_f16 v7, v30, v33
	ds_write_b32 v99, v8 offset:312
	ds_write2_b32 v98, v9, v4 offset1:13
	ds_write2_b32 v98, v10, v11 offset0:26 offset1:39
	ds_write2_b32 v98, v5, v6 offset0:52 offset1:65
	ds_write_b32 v98, v7 offset:312
	s_and_saveexec_b32 s1, s0
	s_cbranch_execz .LBB0_21
; %bb.20:
	v_mul_f16_sdwa v4, v0, v111 dst_sel:DWORD dst_unused:UNUSED_PAD src0_sel:WORD_1 src1_sel:DWORD
	v_mul_f16_sdwa v7, v1, v112 dst_sel:DWORD dst_unused:UNUSED_PAD src0_sel:WORD_1 src1_sel:DWORD
	;; [unrolled: 1-line block ×10, first 2 shown]
	v_fmac_f16_e32 v7, v1, v57
	v_fmac_f16_e32 v8, v31, v60
	;; [unrolled: 1-line block ×3, first 2 shown]
	v_fma_f16 v27, v32, v117, -v27
	v_fma_f16 v0, v0, v111, -v30
	v_mul_f16_sdwa v30, v2, v58 dst_sel:DWORD dst_unused:UNUSED_PAD src0_sel:WORD_1 src1_sel:DWORD
	v_mul_f16_sdwa v35, v3, v59 dst_sel:DWORD dst_unused:UNUSED_PAD src0_sel:WORD_1 src1_sel:DWORD
	v_fma_f16 v31, v31, v115, -v33
	v_fma_f16 v1, v1, v112, -v34
	v_fmac_f16_e32 v5, v3, v59
	v_fmac_f16_e32 v6, v2, v58
	;; [unrolled: 1-line block ×3, first 2 shown]
	v_add_f16_e32 v33, v27, v0
	v_fma_f16 v2, v2, v113, -v30
	v_fma_f16 v3, v3, v114, -v35
	v_add_f16_e32 v30, v31, v1
	v_sub_f16_e32 v11, v7, v8
	v_sub_f16_e32 v28, v4, v9
	v_add_f16_e32 v4, v9, v4
	v_add_f16_e32 v35, v3, v2
	;; [unrolled: 1-line block ×4, first 2 shown]
	v_sub_f16_e32 v10, v5, v6
	v_add_f16_e32 v5, v5, v6
	v_sub_f16_e32 v47, v33, v35
	v_add_f16_e32 v36, v35, v36
	;; [unrolled: 2-line block ×3, first 2 shown]
	v_sub_f16_e32 v48, v4, v5
	v_sub_f16_e32 v2, v3, v2
	;; [unrolled: 1-line block ×4, first 2 shown]
	v_add_f16_e32 v35, v5, v35
	v_sub_f16_e32 v29, v10, v11
	v_sub_f16_e32 v32, v28, v10
	v_add_f16_e32 v10, v10, v11
	v_mul_f16_e32 v3, 0x3a52, v48
	v_sub_f16_e32 v5, v5, v7
	v_add_f16_e32 v31, v55, v35
	v_sub_f16_e32 v27, v2, v1
	v_sub_f16_e32 v11, v11, v28
	v_mul_f16_e32 v9, 0x3a52, v47
	v_sub_f16_e32 v49, v0, v2
	v_add_f16_e32 v2, v2, v1
	v_sub_f16_e32 v30, v30, v33
	v_sub_f16_e32 v1, v1, v0
	v_mul_f16_e32 v29, 0x3846, v29
	v_add_f16_e32 v6, v110, v36
	v_mul_f16_e32 v47, 0x2b26, v8
	v_fmamk_f16 v48, v5, 0x2b26, v3
	v_fmamk_f16 v35, v35, 0xbcab, v31
	v_mul_f16_e32 v27, 0x3846, v27
	v_mul_f16_e32 v51, 0xbb00, v11
	v_fmamk_f16 v8, v8, 0x2b26, v9
	v_mul_f16_e32 v5, 0x2b26, v5
	v_sub_f16_e32 v4, v7, v4
	v_fma_f16 v7, v30, 0xb9e0, -v9
	v_mul_f16_e32 v9, 0xbb00, v1
	v_fmamk_f16 v34, v32, 0xb574, v29
	v_add_f16_e32 v10, v10, v28
	v_fmamk_f16 v36, v36, 0xbcab, v6
	v_add_f16_e32 v28, v48, v35
	;; [unrolled: 2-line block ×3, first 2 shown]
	v_fma_f16 v2, v32, 0x3574, -v51
	v_fma_f16 v30, v30, 0x39e0, -v47
	;; [unrolled: 1-line block ×7, first 2 shown]
	v_fmac_f16_e32 v34, 0xb70e, v10
	v_add_f16_e32 v8, v8, v36
	v_fmac_f16_e32 v48, 0xb70e, v0
	v_fmac_f16_e32 v2, 0xb70e, v10
	v_add_f16_e32 v7, v7, v36
	v_add_f16_e32 v5, v30, v36
	v_fmac_f16_e32 v11, 0xb70e, v10
	v_add_f16_e32 v3, v3, v35
	v_fmac_f16_e32 v9, 0xb70e, v0
	v_fmac_f16_e32 v1, 0xb70e, v0
	v_add_f16_e32 v0, v4, v35
	v_add_f16_e32 v50, v34, v8
	;; [unrolled: 1-line block ×3, first 2 shown]
	v_sub_f16_e32 v29, v5, v11
	v_add_f16_e32 v5, v11, v5
	v_sub_f16_e32 v2, v7, v2
	v_sub_f16_e32 v7, v8, v34
	v_add_f16_e32 v8, v48, v28
	v_lshl_add_u32 v11, v96, 2, v88
	v_sub_f16_e32 v27, v3, v9
	v_add_f16_e32 v30, v1, v0
	v_add_f16_e32 v3, v9, v3
	v_sub_f16_e32 v0, v0, v1
	v_sub_f16_e32 v4, v28, v48
	v_pack_b32_f16 v1, v31, v6
	v_pack_b32_f16 v6, v8, v7
	v_add_nc_u32_e32 v7, 0x1200, v11
	v_pack_b32_f16 v2, v3, v2
	v_pack_b32_f16 v0, v0, v5
	v_add_nc_u32_e32 v3, 0x1400, v11
	v_pack_b32_f16 v5, v30, v29
	v_pack_b32_f16 v8, v27, v10
	;; [unrolled: 1-line block ×3, first 2 shown]
	ds_write2_b32 v7, v1, v6 offset0:122 offset1:135
	ds_write2_b32 v3, v2, v0 offset0:20 offset1:33
	;; [unrolled: 1-line block ×3, first 2 shown]
	ds_write_b32 v11, v4 offset:5408
.LBB0_21:
	s_or_b32 exec_lo, exec_lo, s1
	v_add_nc_u32_e32 v6, 0x200, v73
	s_waitcnt lgkmcnt(0)
	s_barrier
	buffer_gl0_inv
	v_add_nc_u32_e32 v4, 0x800, v73
	ds_read2_b32 v[9:10], v6 offset0:54 offset1:145
	v_add_nc_u32_e32 v0, 0xa00, v73
	v_add_nc_u32_e32 v2, 0x1000, v73
	;; [unrolled: 1-line block ×3, first 2 shown]
	ds_read2_b32 v[27:28], v4 offset0:34 offset1:125
	v_add_nc_u32_e32 v3, 0xc00, v73
	ds_read2_b32 v[7:8], v73 offset1:91
	ds_read2_b32 v[29:30], v0 offset0:88 offset1:179
	ds_read2_b32 v[31:32], v2 offset0:68 offset1:159
	;; [unrolled: 1-line block ×4, first 2 shown]
	ds_read_b32 v1, v73 offset:5096
	s_waitcnt lgkmcnt(0)
	s_barrier
	buffer_gl0_inv
	s_mov_b32 s4, 0x18018018
	s_mov_b32 s5, 0x3f480180
	v_lshrrev_b32_e32 v48, 16, v10
	v_mul_f16_sdwa v62, v12, v10 dst_sel:DWORD dst_unused:UNUSED_PAD src0_sel:WORD_1 src1_sel:DWORD
	v_lshrrev_b32_e32 v56, 16, v9
	v_lshrrev_b32_e32 v50, 16, v30
	v_lshrrev_b32_e32 v49, 16, v27
	v_lshrrev_b32_e32 v52, 16, v33
	v_mul_f16_sdwa v61, v12, v48 dst_sel:DWORD dst_unused:UNUSED_PAD src0_sel:WORD_1 src1_sel:DWORD
	v_lshrrev_b32_e32 v51, 16, v31
	v_lshrrev_b32_e32 v53, 16, v28
	v_mul_f16_sdwa v66, v13, v49 dst_sel:DWORD dst_unused:UNUSED_PAD src0_sel:WORD_1 src1_sel:DWORD
	v_mul_f16_sdwa v67, v13, v27 dst_sel:DWORD dst_unused:UNUSED_PAD src0_sel:WORD_1 src1_sel:DWORD
	;; [unrolled: 1-line block ×3, first 2 shown]
	v_fmac_f16_e32 v61, v12, v10
	v_fma_f16 v10, v12, v48, -v62
	v_mul_f16_sdwa v62, v12, v52 dst_sel:DWORD dst_unused:UNUSED_PAD src0_sel:WORD_1 src1_sel:DWORD
	v_lshrrev_b32_e32 v54, 16, v35
	v_lshrrev_b32_e32 v55, 16, v32
	v_fmac_f16_e32 v66, v13, v27
	v_fma_f16 v27, v13, v49, -v67
	v_fmac_f16_e32 v68, v14, v30
	v_mul_f16_sdwa v30, v14, v30 dst_sel:DWORD dst_unused:UNUSED_PAD src0_sel:WORD_1 src1_sel:DWORD
	v_mul_f16_sdwa v48, v15, v51 dst_sel:DWORD dst_unused:UNUSED_PAD src0_sel:WORD_1 src1_sel:DWORD
	;; [unrolled: 1-line block ×4, first 2 shown]
	v_fmac_f16_e32 v62, v12, v33
	v_mul_f16_sdwa v33, v13, v53 dst_sel:DWORD dst_unused:UNUSED_PAD src0_sel:WORD_1 src1_sel:DWORD
	v_lshrrev_b32_e32 v57, 16, v34
	v_lshrrev_b32_e32 v58, 16, v29
	v_fma_f16 v30, v14, v50, -v30
	v_fmac_f16_e32 v48, v15, v31
	v_fma_f16 v31, v15, v51, -v49
	v_fma_f16 v12, v12, v52, -v67
	v_mul_f16_sdwa v49, v13, v28 dst_sel:DWORD dst_unused:UNUSED_PAD src0_sel:WORD_1 src1_sel:DWORD
	v_mul_f16_sdwa v50, v14, v54 dst_sel:DWORD dst_unused:UNUSED_PAD src0_sel:WORD_1 src1_sel:DWORD
	;; [unrolled: 1-line block ×4, first 2 shown]
	v_fmac_f16_e32 v33, v13, v28
	v_mul_f16_sdwa v28, v15, v32 dst_sel:DWORD dst_unused:UNUSED_PAD src0_sel:WORD_1 src1_sel:DWORD
	v_lshrrev_b32_e32 v59, 16, v36
	v_fma_f16 v13, v13, v53, -v49
	v_fmac_f16_e32 v50, v14, v35
	v_fma_f16 v14, v14, v54, -v51
	v_fmac_f16_e32 v52, v15, v32
	v_mul_f16_sdwa v32, v16, v57 dst_sel:DWORD dst_unused:UNUSED_PAD src0_sel:WORD_1 src1_sel:DWORD
	v_mul_f16_sdwa v49, v17, v58 dst_sel:DWORD dst_unused:UNUSED_PAD src0_sel:WORD_1 src1_sel:DWORD
	;; [unrolled: 1-line block ×3, first 2 shown]
	v_fma_f16 v15, v15, v55, -v28
	v_add_f16_e32 v28, v66, v68
	v_lshrrev_b32_e32 v60, 16, v1
	v_mul_f16_sdwa v35, v16, v34 dst_sel:DWORD dst_unused:UNUSED_PAD src0_sel:WORD_1 src1_sel:DWORD
	v_fmac_f16_e32 v32, v16, v34
	v_fmac_f16_e32 v49, v17, v29
	v_fma_f16 v17, v17, v58, -v51
	v_mul_f16_sdwa v29, v18, v59 dst_sel:DWORD dst_unused:UNUSED_PAD src0_sel:WORD_1 src1_sel:DWORD
	v_mul_f16_sdwa v34, v18, v36 dst_sel:DWORD dst_unused:UNUSED_PAD src0_sel:WORD_1 src1_sel:DWORD
	v_add_f16_e32 v51, v7, v61
	v_fma_f16 v28, -0.5, v28, v7
	v_sub_f16_e32 v53, v10, v31
	v_lshrrev_b32_e32 v11, 16, v7
	v_fma_f16 v16, v16, v57, -v35
	v_mul_f16_sdwa v35, v19, v60 dst_sel:DWORD dst_unused:UNUSED_PAD src0_sel:WORD_1 src1_sel:DWORD
	v_fmac_f16_e32 v29, v18, v36
	v_fma_f16 v18, v18, v59, -v34
	v_add_f16_e32 v34, v51, v66
	v_fmamk_f16 v36, v53, 0xbb9c, v28
	v_sub_f16_e32 v51, v27, v30
	v_sub_f16_e32 v54, v61, v66
	v_sub_f16_e32 v55, v48, v68
	v_add_f16_e32 v57, v61, v48
	v_fmac_f16_e32 v28, 0x3b9c, v53
	v_fmac_f16_e32 v35, v19, v1
	v_mul_f16_sdwa v1, v19, v1 dst_sel:DWORD dst_unused:UNUSED_PAD src0_sel:WORD_1 src1_sel:DWORD
	v_add_f16_e32 v34, v34, v68
	v_fmac_f16_e32 v36, 0xb8b4, v51
	v_add_f16_e32 v54, v54, v55
	v_fma_f16 v7, -0.5, v57, v7
	v_sub_f16_e32 v55, v66, v61
	v_sub_f16_e32 v57, v68, v48
	v_fmac_f16_e32 v28, 0x38b4, v51
	v_add_f16_e32 v58, v11, v10
	v_add_f16_e32 v59, v27, v30
	v_fma_f16 v1, v19, v60, -v1
	v_add_f16_e32 v19, v34, v48
	v_fmac_f16_e32 v36, 0x34f2, v54
	v_fmamk_f16 v34, v51, 0x3b9c, v7
	v_add_f16_e32 v55, v55, v57
	v_fmac_f16_e32 v7, 0xbb9c, v51
	v_add_f16_e32 v51, v58, v27
	v_fma_f16 v57, -0.5, v59, v11
	v_sub_f16_e32 v48, v61, v48
	v_fmac_f16_e32 v28, 0x34f2, v54
	v_add_f16_e32 v54, v10, v31
	v_sub_f16_e32 v59, v10, v27
	v_sub_f16_e32 v10, v27, v10
	;; [unrolled: 1-line block ×3, first 2 shown]
	v_fmac_f16_e32 v34, 0xb8b4, v53
	v_fmac_f16_e32 v7, 0x38b4, v53
	v_add_f16_e32 v51, v51, v30
	v_fmamk_f16 v53, v48, 0x3b9c, v57
	v_sub_f16_e32 v58, v66, v68
	v_sub_f16_e32 v60, v31, v30
	v_fmac_f16_e32 v11, -0.5, v54
	v_fmac_f16_e32 v57, 0xbb9c, v48
	v_add_f16_e32 v30, v33, v50
	v_add_f16_e32 v10, v10, v27
	;; [unrolled: 1-line block ×3, first 2 shown]
	v_lshrrev_b32_e32 v47, 16, v8
	v_fmac_f16_e32 v34, 0x34f2, v55
	v_fmac_f16_e32 v7, 0x34f2, v55
	v_add_f16_e32 v51, v51, v31
	v_fmac_f16_e32 v53, 0x38b4, v58
	v_add_f16_e32 v54, v59, v60
	v_fmamk_f16 v55, v58, 0xbb9c, v11
	v_fmac_f16_e32 v57, 0xb8b4, v58
	v_fma_f16 v30, -0.5, v30, v8
	v_sub_f16_e32 v31, v12, v15
	v_fmac_f16_e32 v11, 0x3b9c, v58
	v_add_f16_e32 v27, v27, v33
	v_add_f16_e32 v61, v62, v52
	v_fmac_f16_e32 v53, 0x34f2, v54
	v_fmac_f16_e32 v55, 0x38b4, v48
	;; [unrolled: 1-line block ×3, first 2 shown]
	v_fmamk_f16 v54, v31, 0xbb9c, v30
	v_sub_f16_e32 v58, v13, v14
	v_sub_f16_e32 v59, v62, v33
	v_sub_f16_e32 v60, v52, v50
	v_fmac_f16_e32 v11, 0xb8b4, v48
	v_add_f16_e32 v27, v27, v50
	v_fmac_f16_e32 v8, -0.5, v61
	v_fmac_f16_e32 v30, 0x3b9c, v31
	v_add_f16_e32 v61, v47, v12
	v_fmac_f16_e32 v55, 0x34f2, v10
	v_fmac_f16_e32 v54, 0xb8b4, v58
	v_add_f16_e32 v48, v59, v60
	v_fmac_f16_e32 v11, 0x34f2, v10
	v_add_f16_e32 v10, v27, v52
	v_fmamk_f16 v27, v58, 0x3b9c, v8
	v_sub_f16_e32 v59, v33, v62
	v_sub_f16_e32 v60, v50, v52
	v_fmac_f16_e32 v30, 0x38b4, v58
	v_add_f16_e32 v66, v13, v14
	v_fmac_f16_e32 v8, 0xbb9c, v58
	v_add_f16_e32 v58, v61, v13
	;; [unrolled: 2-line block ×3, first 2 shown]
	v_fma_f16 v60, -0.5, v66, v47
	v_sub_f16_e32 v52, v62, v52
	v_fmac_f16_e32 v8, 0x38b4, v31
	v_add_f16_e32 v31, v58, v14
	v_add_f16_e32 v58, v12, v15
	v_fmac_f16_e32 v54, 0x34f2, v48
	v_fmac_f16_e32 v30, 0x34f2, v48
	v_fmamk_f16 v48, v52, 0x3b9c, v60
	v_sub_f16_e32 v33, v33, v50
	v_sub_f16_e32 v50, v12, v13
	;; [unrolled: 1-line block ×3, first 2 shown]
	v_fmac_f16_e32 v47, -0.5, v58
	v_fmac_f16_e32 v60, 0xbb9c, v52
	v_sub_f16_e32 v12, v13, v12
	v_sub_f16_e32 v13, v14, v15
	v_add_f16_e32 v14, v49, v29
	v_add_f16_e32 v31, v31, v15
	v_fmac_f16_e32 v48, 0x38b4, v33
	v_add_f16_e32 v50, v50, v61
	v_fmamk_f16 v58, v33, 0xbb9c, v47
	v_fmac_f16_e32 v60, 0xb8b4, v33
	v_add_f16_e32 v12, v12, v13
	v_fmac_f16_e32 v47, 0x3b9c, v33
	v_add_f16_e32 v13, v9, v32
	v_fma_f16 v14, -0.5, v14, v9
	v_sub_f16_e32 v15, v16, v1
	v_fmac_f16_e32 v27, 0x34f2, v59
	v_fmac_f16_e32 v8, 0x34f2, v59
	;; [unrolled: 1-line block ×6, first 2 shown]
	v_add_f16_e32 v13, v13, v49
	v_fmamk_f16 v33, v15, 0xbb9c, v14
	v_sub_f16_e32 v50, v17, v18
	v_sub_f16_e32 v52, v32, v49
	;; [unrolled: 1-line block ×3, first 2 shown]
	v_fmac_f16_e32 v14, 0x3b9c, v15
	v_add_f16_e32 v61, v32, v35
	v_add_f16_e32 v13, v13, v29
	v_fmac_f16_e32 v33, 0xb8b4, v50
	v_add_f16_e32 v52, v52, v59
	v_fmac_f16_e32 v14, 0x38b4, v50
	v_fmac_f16_e32 v9, -0.5, v61
	v_sub_f16_e32 v59, v49, v32
	v_sub_f16_e32 v61, v29, v35
	v_fmac_f16_e32 v58, 0x34f2, v12
	v_fmac_f16_e32 v47, 0x34f2, v12
	v_add_f16_e32 v12, v13, v35
	v_fmac_f16_e32 v33, 0x34f2, v52
	v_fmac_f16_e32 v14, 0x34f2, v52
	v_fmamk_f16 v13, v50, 0x3b9c, v9
	v_add_f16_e32 v52, v17, v18
	v_fmac_f16_e32 v9, 0xbb9c, v50
	v_sub_f16_e32 v32, v32, v35
	v_add_f16_e32 v35, v59, v61
	v_add_f16_e32 v59, v16, v1
	;; [unrolled: 1-line block ×3, first 2 shown]
	v_fma_f16 v52, -0.5, v52, v56
	v_fmac_f16_e32 v13, 0xb8b4, v15
	v_fmac_f16_e32 v9, 0x38b4, v15
	v_sub_f16_e32 v29, v49, v29
	v_fmac_f16_e32 v56, -0.5, v59
	v_add_f16_e32 v15, v50, v17
	v_fmac_f16_e32 v13, 0x34f2, v35
	v_fmac_f16_e32 v9, 0x34f2, v35
	v_sub_f16_e32 v35, v16, v17
	v_fmamk_f16 v59, v29, 0xbb9c, v56
	v_sub_f16_e32 v16, v17, v16
	v_sub_f16_e32 v17, v18, v1
	v_fmac_f16_e32 v56, 0x3b9c, v29
	v_fmamk_f16 v50, v32, 0x3b9c, v52
	v_sub_f16_e32 v49, v1, v18
	v_fmac_f16_e32 v52, 0xbb9c, v32
	v_add_f16_e32 v15, v15, v18
	v_fmac_f16_e32 v59, 0x38b4, v32
	v_add_f16_e32 v16, v16, v17
	v_fmac_f16_e32 v56, 0xb8b4, v32
	v_fmac_f16_e32 v50, 0x38b4, v29
	v_add_f16_e32 v18, v35, v49
	v_fmac_f16_e32 v52, 0xb8b4, v29
	v_add_f16_e32 v1, v15, v1
	v_fmac_f16_e32 v59, 0x34f2, v16
	v_fmac_f16_e32 v56, 0x34f2, v16
	v_pack_b32_f16 v15, v19, v51
	v_pack_b32_f16 v16, v36, v53
	;; [unrolled: 1-line block ×4, first 2 shown]
	v_fmac_f16_e32 v50, 0x34f2, v18
	v_pack_b32_f16 v11, v28, v57
	v_pack_b32_f16 v10, v10, v31
	v_fmac_f16_e32 v52, 0x34f2, v18
	ds_write2_b32 v73, v15, v16 offset1:91
	ds_write2_b32 v6, v17, v7 offset0:54 offset1:145
	ds_write2_b32 v5, v11, v10 offset0:108 offset1:199
	v_pack_b32_f16 v7, v54, v48
	v_pack_b32_f16 v10, v27, v58
	;; [unrolled: 1-line block ×6, first 2 shown]
	v_add_nc_u32_e32 v15, 0xc00, v100
	v_pack_b32_f16 v13, v13, v59
	v_pack_b32_f16 v9, v9, v56
	v_add_nc_u32_e32 v16, 0x1000, v100
	v_pack_b32_f16 v14, v14, v52
	ds_write2_b32 v4, v7, v10 offset0:34 offset1:125
	ds_write2_b32 v0, v8, v11 offset0:88 offset1:179
	;; [unrolled: 1-line block ×4, first 2 shown]
	ds_write_b32 v100, v14 offset:5096
	s_waitcnt lgkmcnt(0)
	s_barrier
	buffer_gl0_inv
	ds_read2_b32 v[7:8], v73 offset1:91
	ds_read2_b32 v[9:10], v5 offset0:108 offset1:199
	ds_read2_b32 v[11:12], v3 offset0:142 offset1:233
	;; [unrolled: 1-line block ×6, first 2 shown]
	ds_read_b32 v19, v73 offset:5096
	s_waitcnt lgkmcnt(7)
	v_lshrrev_b32_e32 v27, 16, v7
	s_waitcnt lgkmcnt(6)
	v_lshrrev_b32_e32 v28, 16, v10
	;; [unrolled: 2-line block ×4, first 2 shown]
	v_mul_f16_sdwa v52, v45, v10 dst_sel:DWORD dst_unused:UNUSED_PAD src0_sel:WORD_1 src1_sel:DWORD
	v_lshrrev_b32_e32 v32, 16, v12
	v_mul_f16_sdwa v50, v45, v28 dst_sel:DWORD dst_unused:UNUSED_PAD src0_sel:WORD_1 src1_sel:DWORD
	v_mul_f16_sdwa v54, v46, v29 dst_sel:DWORD dst_unused:UNUSED_PAD src0_sel:WORD_1 src1_sel:DWORD
	v_lshrrev_b32_e32 v34, 16, v14
	v_fma_f16 v28, v45, v28, -v52
	s_waitcnt lgkmcnt(2)
	v_lshrrev_b32_e32 v35, 16, v17
	v_fmac_f16_e32 v50, v45, v10
	v_mul_f16_sdwa v10, v46, v11 dst_sel:DWORD dst_unused:UNUSED_PAD src0_sel:WORD_1 src1_sel:DWORD
	v_mul_f16_sdwa v45, v43, v31 dst_sel:DWORD dst_unused:UNUSED_PAD src0_sel:WORD_1 src1_sel:DWORD
	v_fmac_f16_e32 v54, v46, v11
	v_mul_f16_sdwa v11, v43, v13 dst_sel:DWORD dst_unused:UNUSED_PAD src0_sel:WORD_1 src1_sel:DWORD
	s_waitcnt lgkmcnt(1)
	v_lshrrev_b32_e32 v47, 16, v0
	v_fma_f16 v10, v46, v29, -v10
	v_mul_f16_sdwa v29, v44, v32 dst_sel:DWORD dst_unused:UNUSED_PAD src0_sel:WORD_1 src1_sel:DWORD
	v_fmac_f16_e32 v45, v43, v13
	v_mul_f16_sdwa v13, v44, v12 dst_sel:DWORD dst_unused:UNUSED_PAD src0_sel:WORD_1 src1_sel:DWORD
	v_fma_f16 v11, v43, v31, -v11
	v_mul_f16_sdwa v31, v41, v34 dst_sel:DWORD dst_unused:UNUSED_PAD src0_sel:WORD_1 src1_sel:DWORD
	v_fmac_f16_e32 v29, v44, v12
	v_mul_f16_sdwa v12, v41, v14 dst_sel:DWORD dst_unused:UNUSED_PAD src0_sel:WORD_1 src1_sel:DWORD
	v_fma_f16 v13, v44, v32, -v13
	v_mul_f16_sdwa v32, v42, v35 dst_sel:DWORD dst_unused:UNUSED_PAD src0_sel:WORD_1 src1_sel:DWORD
	v_lshrrev_b32_e32 v48, 16, v18
	v_fmac_f16_e32 v31, v41, v14
	v_mul_f16_sdwa v14, v42, v17 dst_sel:DWORD dst_unused:UNUSED_PAD src0_sel:WORD_1 src1_sel:DWORD
	v_lshrrev_b32_e32 v51, 16, v1
	v_fma_f16 v12, v41, v34, -v12
	v_mul_f16_sdwa v34, v39, v47 dst_sel:DWORD dst_unused:UNUSED_PAD src0_sel:WORD_1 src1_sel:DWORD
	v_fmac_f16_e32 v32, v42, v17
	v_mul_f16_sdwa v17, v39, v0 dst_sel:DWORD dst_unused:UNUSED_PAD src0_sel:WORD_1 src1_sel:DWORD
	v_fma_f16 v14, v42, v35, -v14
	v_mul_f16_sdwa v35, v40, v48 dst_sel:DWORD dst_unused:UNUSED_PAD src0_sel:WORD_1 src1_sel:DWORD
	s_waitcnt lgkmcnt(0)
	v_lshrrev_b32_e32 v53, 16, v19
	v_fmac_f16_e32 v34, v39, v0
	v_mul_f16_sdwa v0, v40, v18 dst_sel:DWORD dst_unused:UNUSED_PAD src0_sel:WORD_1 src1_sel:DWORD
	v_fma_f16 v17, v39, v47, -v17
	v_mul_f16_sdwa v39, v37, v51 dst_sel:DWORD dst_unused:UNUSED_PAD src0_sel:WORD_1 src1_sel:DWORD
	v_fmac_f16_e32 v35, v40, v18
	v_mul_f16_sdwa v18, v37, v1 dst_sel:DWORD dst_unused:UNUSED_PAD src0_sel:WORD_1 src1_sel:DWORD
	v_fma_f16 v0, v40, v48, -v0
	v_mul_f16_sdwa v40, v38, v53 dst_sel:DWORD dst_unused:UNUSED_PAD src0_sel:WORD_1 src1_sel:DWORD
	v_fmac_f16_e32 v39, v37, v1
	v_mul_f16_sdwa v1, v38, v19 dst_sel:DWORD dst_unused:UNUSED_PAD src0_sel:WORD_1 src1_sel:DWORD
	v_fma_f16 v18, v37, v51, -v18
	v_add_f16_e32 v37, v50, v54
	v_fmac_f16_e32 v40, v38, v19
	v_add_f16_e32 v19, v7, v50
	v_fma_f16 v1, v38, v53, -v1
	v_add_f16_e32 v38, v28, v10
	v_fma_f16 v7, -0.5, v37, v7
	v_sub_f16_e32 v37, v28, v10
	v_add_f16_e32 v28, v27, v28
	v_lshrrev_b32_e32 v30, 16, v8
	v_fmac_f16_e32 v27, -0.5, v38
	v_sub_f16_e32 v38, v50, v54
	v_fmamk_f16 v41, v37, 0xbaee, v7
	v_add_f16_e32 v10, v28, v10
	v_add_f16_e32 v28, v45, v29
	v_fmac_f16_e32 v7, 0x3aee, v37
	v_fmamk_f16 v37, v38, 0x3aee, v27
	v_add_f16_e32 v42, v8, v45
	v_fmac_f16_e32 v27, 0xbaee, v38
	v_add_f16_e32 v38, v11, v13
	v_fmac_f16_e32 v8, -0.5, v28
	v_sub_f16_e32 v28, v11, v13
	v_add_f16_e32 v11, v30, v11
	v_add_f16_e32 v42, v42, v29
	v_fmac_f16_e32 v30, -0.5, v38
	v_sub_f16_e32 v29, v45, v29
	v_lshrrev_b32_e32 v33, 16, v15
	v_add_f16_e32 v11, v11, v13
	v_add_f16_e32 v13, v31, v32
	v_fmamk_f16 v38, v28, 0xbaee, v8
	v_fmac_f16_e32 v8, 0x3aee, v28
	v_fmamk_f16 v28, v29, 0x3aee, v30
	v_fmac_f16_e32 v30, 0xbaee, v29
	v_add_f16_e32 v29, v12, v14
	v_add_f16_e32 v43, v15, v31
	v_fma_f16 v13, -0.5, v13, v15
	v_sub_f16_e32 v15, v12, v14
	v_add_f16_e32 v12, v33, v12
	v_fmac_f16_e32 v33, -0.5, v29
	v_sub_f16_e32 v29, v31, v32
	v_lshrrev_b32_e32 v36, 16, v16
	v_fmamk_f16 v31, v15, 0xbaee, v13
	v_add_f16_e32 v12, v12, v14
	v_add_f16_e32 v14, v34, v35
	v_fmac_f16_e32 v13, 0x3aee, v15
	v_fmamk_f16 v15, v29, 0x3aee, v33
	v_fmac_f16_e32 v33, 0xbaee, v29
	v_add_f16_e32 v29, v17, v0
	v_add_f16_e32 v43, v43, v32
	;; [unrolled: 1-line block ×3, first 2 shown]
	v_fmac_f16_e32 v16, -0.5, v14
	v_sub_f16_e32 v14, v17, v0
	v_add_f16_e32 v17, v36, v17
	v_fmac_f16_e32 v36, -0.5, v29
	v_sub_f16_e32 v29, v34, v35
	v_lshrrev_b32_e32 v49, 16, v9
	v_add_f16_e32 v19, v19, v54
	v_fmamk_f16 v34, v14, 0xbaee, v16
	v_fmac_f16_e32 v16, 0x3aee, v14
	v_add_f16_e32 v14, v39, v40
	v_add_f16_e32 v0, v17, v0
	v_fmamk_f16 v17, v29, 0x3aee, v36
	v_fmac_f16_e32 v36, 0xbaee, v29
	v_add_f16_e32 v29, v18, v1
	v_add_f16_e32 v32, v32, v35
	;; [unrolled: 1-line block ×3, first 2 shown]
	v_fmac_f16_e32 v9, -0.5, v14
	v_sub_f16_e32 v14, v18, v1
	v_add_f16_e32 v18, v49, v18
	v_pack_b32_f16 v10, v19, v10
	v_fmac_f16_e32 v49, -0.5, v29
	v_sub_f16_e32 v29, v39, v40
	v_pack_b32_f16 v19, v38, v28
	v_add_f16_e32 v1, v18, v1
	v_pack_b32_f16 v18, v41, v37
	v_add_nc_u32_e32 v28, 0x600, v89
	ds_write_b32 v73, v10
	v_pack_b32_f16 v7, v7, v27
	v_pack_b32_f16 v10, v42, v11
	;; [unrolled: 1-line block ×3, first 2 shown]
	v_add_nc_u32_e32 v11, 0xc00, v89
	v_pack_b32_f16 v12, v43, v12
	v_add_f16_e32 v35, v35, v40
	v_pack_b32_f16 v15, v31, v15
	v_fmamk_f16 v39, v14, 0xbaee, v9
	v_fmac_f16_e32 v9, 0x3aee, v14
	v_fmamk_f16 v14, v29, 0x3aee, v49
	v_pack_b32_f16 v13, v13, v33
	v_fmac_f16_e32 v49, 0xbaee, v29
	v_pack_b32_f16 v0, v32, v0
	ds_write2_b32 v28, v18, v19 offset0:71 offset1:162
	ds_write2_b32 v11, v7, v8 offset0:142 offset1:233
	;; [unrolled: 1-line block ×3, first 2 shown]
	ds_write_b32 v65, v15 offset:1820
	ds_write_b32 v65, v13 offset:3640
	;; [unrolled: 1-line block ×3, first 2 shown]
	v_pack_b32_f16 v0, v34, v17
	v_pack_b32_f16 v7, v16, v36
	;; [unrolled: 1-line block ×5, first 2 shown]
	ds_write_b32 v64, v0 offset:1820
	ds_write_b32 v64, v7 offset:3640
	;; [unrolled: 1-line block ×5, first 2 shown]
	s_waitcnt lgkmcnt(0)
	s_barrier
	buffer_gl0_inv
	ds_read2_b32 v[0:1], v73 offset1:105
	s_waitcnt lgkmcnt(0)
	v_lshrrev_b32_e32 v9, 16, v0
	v_lshrrev_b32_e32 v15, 16, v1
	v_mul_f16_sdwa v7, v87, v9 dst_sel:DWORD dst_unused:UNUSED_PAD src0_sel:WORD_1 src1_sel:DWORD
	v_mul_f16_sdwa v16, v86, v15 dst_sel:DWORD dst_unused:UNUSED_PAD src0_sel:WORD_1 src1_sel:DWORD
	v_fmac_f16_e32 v7, v87, v0
	v_mul_f16_sdwa v0, v87, v0 dst_sel:DWORD dst_unused:UNUSED_PAD src0_sel:WORD_1 src1_sel:DWORD
	v_fmac_f16_e32 v16, v86, v1
	v_mul_f16_sdwa v1, v86, v1 dst_sel:DWORD dst_unused:UNUSED_PAD src0_sel:WORD_1 src1_sel:DWORD
	v_cvt_f32_f16_e32 v7, v7
	v_fma_f16 v0, v87, v9, -v0
	v_fma_f16 v1, v86, v15, -v1
	v_cvt_f64_f32_e32 v[7:8], v7
	v_cvt_f32_f16_e32 v0, v0
	v_cvt_f32_f16_e32 v1, v1
	v_cvt_f64_f32_e32 v[9:10], v0
	v_mul_f64 v[7:8], v[7:8], s[4:5]
	v_mul_f64 v[9:10], v[9:10], s[4:5]
	v_and_or_b32 v0, 0x1ff, v8, v7
	v_lshrrev_b32_e32 v7, 8, v8
	v_bfe_u32 v11, v8, 20, 11
	v_cmp_ne_u32_e64 s0, 0, v0
	v_and_or_b32 v9, 0x1ff, v10, v9
	v_lshrrev_b32_e32 v14, 8, v10
	v_bfe_u32 v17, v10, 20, 11
	v_add_nc_u32_e32 v18, 0xfffffc10, v11
	v_cndmask_b32_e64 v0, 0, 1, s0
	v_cmp_ne_u32_e64 s0, 0, v9
	v_cmp_eq_u32_e64 s2, 0x40f, v18
	v_and_or_b32 v7, 0xffe, v7, v0
	v_sub_nc_u32_e32 v0, 0x3f1, v11
	v_cndmask_b32_e64 v9, 0, 1, s0
	v_cvt_f32_f16_e32 v11, v16
	v_or_b32_e32 v12, 0x1000, v7
	v_med3_i32 v0, v0, 0, 13
	v_and_or_b32 v9, 0xffe, v14, v9
	v_sub_nc_u32_e32 v14, 0x3f1, v17
	v_lshl_or_b32 v27, v18, 12, v7
	v_lshrrev_b32_e32 v13, v0, v12
	v_or_b32_e32 v16, 0x1000, v9
	v_med3_i32 v19, v14, 0, 13
	v_lshlrev_b32_e32 v0, v0, v13
	v_lshrrev_b32_e32 v28, v19, v16
	v_cmp_ne_u32_e64 s0, v0, v12
	v_cvt_f64_f32_e32 v[11:12], v11
	v_lshlrev_b32_e32 v19, v19, v28
	v_cndmask_b32_e64 v0, 0, 1, s0
	v_cmp_gt_i32_e64 s0, 1, v18
	v_or_b32_e32 v0, v13, v0
	v_mad_u64_u32 v[13:14], null, s10, v26, 0
	v_cndmask_b32_e64 v27, v27, v0, s0
	v_cmp_ne_u32_e64 s0, v19, v16
	v_add_nc_u32_e32 v19, 0xfffffc10, v17
	v_mov_b32_e32 v0, v14
	v_and_b32_e32 v29, 7, v27
	v_cndmask_b32_e64 v14, 0, 1, s0
	v_lshrrev_b32_e32 v16, 2, v27
	v_mul_f64 v[11:12], v[11:12], s[4:5]
	v_lshl_or_b32 v17, v19, 12, v9
	v_cmp_lt_i32_e64 s0, 5, v29
	v_cmp_eq_u32_e64 s1, 3, v29
	v_or_b32_e32 v14, v28, v14
	s_or_b32 s0, s1, s0
	v_add_co_ci_u32_e64 v16, s0, 0, v16, s0
	v_cmp_gt_i32_e64 s0, 1, v19
	v_cndmask_b32_e64 v17, v17, v14, s0
	v_cmp_ne_u32_e64 s0, 0, v7
	v_cvt_f64_f32_e32 v[14:15], v1
	v_mad_u64_u32 v[0:1], null, s11, v26, v[0:1]
	v_and_b32_e32 v27, 7, v17
	v_cndmask_b32_e64 v7, 0, 1, s0
	v_cmp_gt_i32_e64 s0, 31, v18
	v_lshrrev_b32_e32 v1, 2, v17
	v_lshrrev_b32_e32 v17, 8, v12
	v_cmp_eq_u32_e64 s1, 3, v27
	v_lshl_or_b32 v7, v7, 9, 0x7c00
	v_cndmask_b32_e64 v16, 0x7c00, v16, s0
	v_cmp_lt_i32_e64 s0, 5, v27
	v_bfe_u32 v27, v12, 20, 11
	v_cndmask_b32_e64 v26, v16, v7, s2
	v_and_or_b32 v7, 0x1ff, v12, v11
	s_or_b32 s0, s1, s0
	v_lshrrev_b32_e32 v11, 16, v8
	v_add_co_ci_u32_e64 v1, s0, 0, v1, s0
	v_cmp_ne_u32_e64 s0, 0, v7
	v_mad_u64_u32 v[7:8], null, s8, v84, 0
	v_sub_nc_u32_e32 v29, 0x3f1, v27
	v_lshrrev_b32_e32 v12, 16, v12
	v_cndmask_b32_e64 v16, 0, 1, s0
	v_cmp_ne_u32_e64 s0, 0, v9
	v_med3_i32 v29, v29, 0, 13
	v_and_or_b32 v28, 0xffe, v17, v16
	v_mul_f64 v[15:16], v[14:15], s[4:5]
	v_cndmask_b32_e64 v9, 0, 1, s0
	v_cmp_gt_i32_e64 s0, 31, v19
	ds_read2_b32 v[17:18], v6 offset0:82 offset1:187
	v_or_b32_e32 v30, 0x1000, v28
	v_lshl_or_b32 v9, v9, 9, 0x7c00
	v_cndmask_b32_e64 v14, 0x7c00, v1, s0
	v_mov_b32_e32 v1, v8
	v_cmp_eq_u32_e64 s0, 0x40f, v19
	v_cndmask_b32_e64 v19, v14, v9, s0
	v_mad_u64_u32 v[8:9], null, s9, v84, v[1:2]
	v_lshrrev_b32_e32 v9, v29, v30
	v_lshrrev_b32_e32 v1, 16, v10
	v_mov_b32_e32 v14, v0
	v_and_or_b32 v10, 0x8000, v11, v26
	v_lshlrev_b32_e32 v0, v29, v9
	v_and_or_b32 v11, 0x8000, v1, v19
	v_and_or_b32 v1, 0x1ff, v16, v15
	s_waitcnt lgkmcnt(0)
	v_lshrrev_b32_e32 v26, 16, v17
	v_and_b32_e32 v19, 0xffff, v10
	v_cmp_ne_u32_e64 s0, v0, v30
	v_add_nc_u32_e32 v15, 0xfffffc10, v27
	v_lshrrev_b32_e32 v27, 8, v16
	v_mul_f16_sdwa v10, v85, v26 dst_sel:DWORD dst_unused:UNUSED_PAD src0_sel:WORD_1 src1_sel:DWORD
	v_bfe_u32 v29, v16, 20, 11
	v_cndmask_b32_e64 v0, 0, 1, s0
	v_cmp_ne_u32_e64 s0, 0, v1
	v_lshl_or_b32 v11, v11, 16, v19
	v_fmac_f16_e32 v10, v85, v17
	v_lshlrev_b64 v[7:8], 2, v[7:8]
	v_or_b32_e32 v0, v9, v0
	v_cndmask_b32_e64 v1, 0, 1, s0
	v_lshl_or_b32 v9, v15, 12, v28
	v_cmp_gt_i32_e64 s0, 1, v15
	v_cvt_f32_f16_e32 v10, v10
	v_lshrrev_b32_e32 v16, 16, v16
	v_and_or_b32 v27, 0xffe, v27, v1
	v_sub_nc_u32_e32 v1, 0x3f1, v29
	v_cndmask_b32_e64 v30, v9, v0, s0
	v_cvt_f64_f32_e32 v[9:10], v10
	v_or_b32_e32 v31, 0x1000, v27
	v_med3_i32 v32, v1, 0, 13
	v_lshlrev_b64 v[0:1], 2, v[13:14]
	v_and_b32_e32 v13, 7, v30
	v_lshrrev_b32_e32 v14, v32, v31
	v_add_co_u32 v19, s0, s6, v0
	v_add_co_ci_u32_e64 v33, s0, s7, v1, s0
	v_lshlrev_b32_e32 v0, v32, v14
	v_cmp_lt_i32_e64 s0, 5, v13
	v_cmp_eq_u32_e64 s1, 3, v13
	v_lshrrev_b32_e32 v13, 2, v30
	v_mul_f16_sdwa v1, v85, v17 dst_sel:DWORD dst_unused:UNUSED_PAD src0_sel:WORD_1 src1_sel:DWORD
	v_cmp_ne_u32_e64 s2, v0, v31
	v_add_nc_u32_e32 v17, 0xfffffc10, v29
	s_or_b32 s0, s1, s0
	v_add_co_ci_u32_e64 v13, s0, 0, v13, s0
	v_cndmask_b32_e64 v0, 0, 1, s2
	v_fma_f16 v26, v85, v26, -v1
	v_cmp_ne_u32_e64 s0, 0, v28
	v_lshl_or_b32 v29, v17, 12, v27
	s_mul_i32 s2, s8, 0x69
	v_or_b32_e32 v14, v14, v0
	v_mul_f64 v[0:1], v[9:10], s[4:5]
	v_cvt_f32_f16_e32 v9, v26
	v_cndmask_b32_e64 v26, 0, 1, s0
	v_cmp_gt_i32_e64 s0, 1, v17
	v_cvt_f64_f32_e32 v[9:10], v9
	v_lshl_or_b32 v26, v26, 9, 0x7c00
	v_cndmask_b32_e64 v14, v29, v14, s0
	v_cmp_gt_i32_e64 s0, 31, v15
	v_and_b32_e32 v28, 7, v14
	v_cndmask_b32_e64 v13, 0x7c00, v13, s0
	v_add_co_u32 v7, s0, v19, v7
	v_add_co_ci_u32_e64 v8, s0, v33, v8, s0
	v_cmp_eq_u32_e64 s0, 0x40f, v15
	v_cmp_eq_u32_e64 s1, 3, v28
	global_store_dword v[7:8], v11, off
	v_lshrrev_b32_e32 v11, 2, v14
	v_cndmask_b32_e64 v13, v13, v26, s0
	v_cmp_lt_i32_e64 s0, 5, v28
	v_and_or_b32 v0, 0x1ff, v1, v0
	v_lshrrev_b32_e32 v14, 8, v1
	v_mul_f64 v[9:10], v[9:10], s[4:5]
	v_and_or_b32 v13, 0x8000, v12, v13
	s_or_b32 s0, s1, s0
	v_bfe_u32 v15, v1, 20, 11
	v_add_co_ci_u32_e64 v11, s0, 0, v11, s0
	v_cmp_ne_u32_e64 s0, 0, v27
	s_mul_hi_u32 s1, s8, 0x69
	v_sub_nc_u32_e32 v19, 0x3f1, v15
	v_and_b32_e32 v13, 0xffff, v13
	v_cndmask_b32_e64 v12, 0, 1, s0
	v_cmp_ne_u32_e64 s0, 0, v0
	v_med3_i32 v19, v19, 0, 13
	v_lshl_or_b32 v12, v12, 9, 0x7c00
	v_cndmask_b32_e64 v0, 0, 1, s0
	v_cmp_gt_i32_e64 s0, 31, v17
	v_and_or_b32 v0, 0xffe, v14, v0
	v_cndmask_b32_e64 v11, 0x7c00, v11, s0
	v_lshrrev_b32_e32 v14, 16, v18
	v_cmp_eq_u32_e64 s0, 0x40f, v17
	v_and_or_b32 v9, 0x1ff, v10, v9
	v_or_b32_e32 v17, 0x1000, v0
	v_lshrrev_b32_e32 v27, 8, v10
	v_bfe_u32 v28, v10, 20, 11
	v_cndmask_b32_e64 v11, v11, v12, s0
	v_mul_f16_sdwa v12, v83, v14 dst_sel:DWORD dst_unused:UNUSED_PAD src0_sel:WORD_1 src1_sel:DWORD
	v_lshrrev_b32_e32 v26, v19, v17
	s_mul_i32 s0, s9, 0x69
	v_lshrrev_b32_e32 v10, 16, v10
	s_add_i32 s3, s1, s0
	v_fmac_f16_e32 v12, v83, v18
	v_lshlrev_b32_e32 v19, v19, v26
	v_cmp_ne_u32_e64 s0, 0, v9
	v_and_or_b32 v16, 0x8000, v16, v11
	v_mul_f16_sdwa v18, v83, v18 dst_sel:DWORD dst_unused:UNUSED_PAD src0_sel:WORD_1 src1_sel:DWORD
	v_cvt_f32_f16_e32 v11, v12
	s_lshl_b64 s[6:7], s[2:3], 2
	v_cndmask_b32_e64 v9, 0, 1, s0
	v_cmp_ne_u32_e64 s0, v19, v17
	v_add_nc_u32_e32 v19, 0xfffffc10, v15
	v_cvt_f64_f32_e32 v[11:12], v11
	v_sub_nc_u32_e32 v15, 0x3f1, v28
	v_and_or_b32 v9, 0xffe, v27, v9
	v_cndmask_b32_e64 v17, 0, 1, s0
	v_cmp_gt_i32_e64 s0, 1, v19
	v_lshl_or_b32 v16, v16, 16, v13
	v_med3_i32 v15, v15, 0, 13
	v_or_b32_e32 v27, 0x1000, v9
	v_or_b32_e32 v17, v26, v17
	v_lshl_or_b32 v26, v19, 12, v0
	v_fma_f16 v13, v83, v14, -v18
	v_cndmask_b32_e64 v17, v26, v17, s0
	v_lshrrev_b32_e32 v26, v15, v27
	v_add_co_u32 v7, s0, v7, s6
	v_cvt_f32_f16_e32 v13, v13
	v_and_b32_e32 v18, 7, v17
	v_lshlrev_b32_e32 v15, v15, v26
	v_add_co_ci_u32_e64 v8, s0, s7, v8, s0
	v_mul_f64 v[11:12], v[11:12], s[4:5]
	v_cmp_lt_i32_e64 s0, 5, v18
	v_cmp_ne_u32_e64 s1, v15, v27
	v_cvt_f64_f32_e32 v[13:14], v13
	global_store_dword v[7:8], v16, off
	v_lshrrev_b32_e32 v16, 2, v17
	v_add_nc_u32_e32 v27, 0xfffffc10, v28
	v_cndmask_b32_e64 v15, 0, 1, s1
	v_cmp_eq_u32_e64 s1, 3, v18
	v_lshl_or_b32 v17, v27, 12, v9
	v_or_b32_e32 v15, v26, v15
	s_or_b32 s0, s1, s0
	v_add_co_ci_u32_e64 v16, s0, 0, v16, s0
	v_cmp_ne_u32_e64 s0, 0, v0
	v_cndmask_b32_e64 v0, 0, 1, s0
	v_cmp_gt_i32_e64 s0, 1, v27
	v_and_or_b32 v11, 0x1ff, v12, v11
	v_mul_f64 v[13:14], v[13:14], s[4:5]
	v_lshrrev_b32_e32 v28, 8, v12
	v_lshl_or_b32 v0, v0, 9, 0x7c00
	v_cndmask_b32_e64 v17, v17, v15, s0
	v_cmp_gt_i32_e64 s0, 31, v19
	v_add_nc_u32_e32 v15, 0x600, v73
	v_bfe_u32 v29, v12, 20, 11
	v_and_b32_e32 v26, 7, v17
	v_cndmask_b32_e64 v18, 0x7c00, v16, s0
	v_cmp_ne_u32_e64 s0, 0, v11
	ds_read2_b32 v[15:16], v15 offset0:36 offset1:141
	v_cmp_eq_u32_e64 s1, 3, v26
	v_cndmask_b32_e64 v11, 0, 1, s0
	v_cmp_eq_u32_e64 s0, 0x40f, v19
	v_lshrrev_b32_e32 v19, 16, v1
	v_lshrrev_b32_e32 v1, 2, v17
	v_and_or_b32 v11, 0xffe, v28, v11
	v_cndmask_b32_e64 v18, v18, v0, s0
	v_cmp_lt_i32_e64 s0, 5, v26
	v_sub_nc_u32_e32 v0, 0x3f1, v29
	v_and_or_b32 v13, 0x1ff, v14, v13
	v_or_b32_e32 v17, 0x1000, v11
	v_lshrrev_b32_e32 v31, 8, v14
	s_or_b32 s0, s1, s0
	v_med3_i32 v0, v0, 0, 13
	v_add_co_ci_u32_e64 v1, s0, 0, v1, s0
	v_cmp_ne_u32_e64 s0, 0, v9
	s_waitcnt lgkmcnt(0)
	v_lshrrev_b32_e32 v28, 16, v15
	v_lshrrev_b32_e32 v26, v0, v17
	v_bfe_u32 v32, v14, 20, 11
	v_and_or_b32 v18, 0x8000, v19, v18
	v_cndmask_b32_e64 v9, 0, 1, s0
	v_cmp_gt_i32_e64 s0, 31, v27
	v_lshlrev_b32_e32 v0, v0, v26
	v_lshrrev_b32_e32 v14, 16, v14
	v_and_b32_e32 v18, 0xffff, v18
	v_lshl_or_b32 v9, v9, 9, 0x7c00
	v_cndmask_b32_e64 v30, 0x7c00, v1, s0
	v_mul_f16_sdwa v1, v82, v28 dst_sel:DWORD dst_unused:UNUSED_PAD src0_sel:WORD_1 src1_sel:DWORD
	v_cmp_ne_u32_e64 s0, 0, v13
	v_fmac_f16_e32 v1, v82, v15
	v_cndmask_b32_e64 v13, 0, 1, s0
	v_cmp_ne_u32_e64 s0, v0, v17
	v_add_nc_u32_e32 v17, 0xfffffc10, v29
	v_sub_nc_u32_e32 v29, 0x3f1, v32
	v_cvt_f32_f16_e32 v1, v1
	v_and_or_b32 v13, 0xffe, v31, v13
	v_cndmask_b32_e64 v0, 0, 1, s0
	v_lshl_or_b32 v31, v17, 12, v11
	v_med3_i32 v29, v29, 0, 13
	v_cmp_gt_i32_e64 s0, 1, v17
	v_or_b32_e32 v33, 0x1000, v13
	v_or_b32_e32 v26, v26, v0
	v_cvt_f64_f32_e32 v[0:1], v1
	v_mul_f16_sdwa v15, v82, v15 dst_sel:DWORD dst_unused:UNUSED_PAD src0_sel:WORD_1 src1_sel:DWORD
	v_cndmask_b32_e64 v26, v31, v26, s0
	v_cmp_eq_u32_e64 s0, 0x40f, v27
	v_lshrrev_b32_e32 v27, v29, v33
	v_and_b32_e32 v19, 7, v26
	v_cndmask_b32_e64 v9, v30, v9, s0
	v_lshlrev_b32_e32 v29, v29, v27
	v_cmp_lt_i32_e64 s0, 5, v19
	v_and_or_b32 v30, 0x8000, v10, v9
	v_fma_f16 v9, v82, v28, -v15
	v_cmp_ne_u32_e64 s1, v29, v33
	v_add_nc_u32_e32 v15, 0xfffffc10, v32
	v_lshl_or_b32 v18, v30, 16, v18
	v_cvt_f32_f16_e32 v9, v9
	v_cndmask_b32_e64 v10, 0, 1, s1
	v_cmp_eq_u32_e64 s1, 3, v19
	v_lshrrev_b32_e32 v19, 2, v26
	v_mul_f64 v[0:1], v[0:1], s[4:5]
	v_or_b32_e32 v26, v27, v10
	v_cvt_f64_f32_e32 v[9:10], v9
	s_or_b32 s0, s1, s0
	v_lshl_or_b32 v27, v15, 12, v13
	v_add_co_ci_u32_e64 v19, s0, 0, v19, s0
	v_cmp_ne_u32_e64 s0, 0, v11
	v_cndmask_b32_e64 v11, 0, 1, s0
	v_cmp_gt_i32_e64 s0, 1, v15
	v_lshl_or_b32 v11, v11, 9, 0x7c00
	v_cndmask_b32_e64 v26, v27, v26, s0
	v_cmp_gt_i32_e64 s0, 31, v17
	v_and_or_b32 v0, 0x1ff, v1, v0
	v_and_b32_e32 v27, 7, v26
	v_cndmask_b32_e64 v19, 0x7c00, v19, s0
	v_add_co_u32 v7, s0, v7, s6
	v_add_co_ci_u32_e64 v8, s0, s7, v8, s0
	v_cmp_eq_u32_e64 s0, 0x40f, v17
	v_mul_f64 v[9:10], v[9:10], s[4:5]
	v_cmp_ne_u32_e64 s2, 0, v0
	v_cmp_eq_u32_e64 s1, 3, v27
	global_store_dword v[7:8], v18, off
	v_cndmask_b32_e64 v17, v19, v11, s0
	v_cmp_lt_i32_e64 s0, 5, v27
	v_lshrrev_b32_e32 v11, 2, v26
	v_lshrrev_b32_e32 v26, 16, v16
	;; [unrolled: 1-line block ×3, first 2 shown]
	v_cndmask_b32_e64 v0, 0, 1, s2
	v_lshrrev_b32_e32 v12, 8, v1
	v_bfe_u32 v27, v1, 20, 11
	s_or_b32 s0, s1, s0
	v_mul_f16_sdwa v28, v81, v26 dst_sel:DWORD dst_unused:UNUSED_PAD src0_sel:WORD_1 src1_sel:DWORD
	v_add_co_ci_u32_e64 v11, s0, 0, v11, s0
	v_and_or_b32 v0, 0xffe, v12, v0
	v_sub_nc_u32_e32 v12, 0x3f1, v27
	v_cmp_ne_u32_e64 s0, 0, v13
	v_fmac_f16_e32 v28, v81, v16
	v_and_or_b32 v17, 0x8000, v19, v17
	v_or_b32_e32 v29, 0x1000, v0
	v_med3_i32 v30, v12, 0, 13
	v_cndmask_b32_e64 v13, 0, 1, s0
	v_cmp_gt_i32_e64 s0, 31, v15
	v_cvt_f32_f16_e32 v12, v28
	v_and_or_b32 v9, 0x1ff, v10, v9
	v_lshrrev_b32_e32 v31, v30, v29
	v_lshl_or_b32 v13, v13, 9, 0x7c00
	v_cndmask_b32_e64 v28, 0x7c00, v11, s0
	v_cmp_eq_u32_e64 s0, 0x40f, v15
	v_cvt_f64_f32_e32 v[11:12], v12
	v_lshlrev_b32_e32 v15, v30, v31
	v_lshrrev_b32_e32 v19, 8, v10
	v_add_nc_u32_e32 v27, 0xfffffc10, v27
	v_cndmask_b32_e64 v13, v28, v13, s0
	v_cmp_ne_u32_e64 s0, 0, v9
	v_bfe_u32 v28, v10, 20, 11
	v_and_b32_e32 v17, 0xffff, v17
	v_mul_f16_sdwa v16, v81, v16 dst_sel:DWORD dst_unused:UNUSED_PAD src0_sel:WORD_1 src1_sel:DWORD
	v_and_or_b32 v13, 0x8000, v14, v13
	v_cndmask_b32_e64 v9, 0, 1, s0
	v_cmp_ne_u32_e64 s0, v15, v29
	v_lshl_or_b32 v29, v27, 12, v0
	v_fma_f16 v16, v81, v26, -v16
	v_lshl_or_b32 v17, v13, 16, v17
	v_and_or_b32 v9, 0xffe, v19, v9
	v_cndmask_b32_e64 v15, 0, 1, s0
	v_sub_nc_u32_e32 v19, 0x3f1, v28
	v_cmp_gt_i32_e64 s0, 1, v27
	v_cvt_f32_f16_e32 v16, v16
	v_or_b32_e32 v14, 0x1000, v9
	v_or_b32_e32 v15, v31, v15
	v_med3_i32 v19, v19, 0, 13
	v_mul_f64 v[11:12], v[11:12], s[4:5]
	v_lshrrev_b32_e32 v1, 16, v1
	v_lshrrev_b32_e32 v10, 16, v10
	v_cndmask_b32_e64 v15, v29, v15, s0
	v_lshrrev_b32_e32 v29, v19, v14
	v_and_b32_e32 v30, 7, v15
	v_lshlrev_b32_e32 v13, v19, v29
	v_lshrrev_b32_e32 v15, 2, v15
	v_add_nc_u32_e32 v19, 0xfffffc10, v28
	v_cmp_lt_i32_e64 s0, 5, v30
	v_cmp_eq_u32_e64 s1, 3, v30
	v_cmp_ne_u32_e64 s2, v13, v14
	v_cvt_f64_f32_e32 v[13:14], v16
	v_lshl_or_b32 v16, v19, 12, v9
	s_or_b32 s0, s1, s0
	v_cndmask_b32_e64 v18, 0, 1, s2
	v_add_co_ci_u32_e64 v26, s0, 0, v15, s0
	v_cmp_ne_u32_e64 s0, 0, v0
	v_and_or_b32 v11, 0x1ff, v12, v11
	v_or_b32_e32 v15, v29, v18
	v_lshrrev_b32_e32 v28, 8, v12
	v_bfe_u32 v29, v12, 20, 11
	v_cndmask_b32_e64 v0, 0, 1, s0
	v_cmp_gt_i32_e64 s0, 1, v19
	v_lshrrev_b32_e32 v12, 16, v12
	v_lshl_or_b32 v0, v0, 9, 0x7c00
	v_cndmask_b32_e64 v18, v16, v15, s0
	v_cmp_ne_u32_e64 s0, 0, v11
	ds_read2_b32 v[15:16], v4 offset0:118 offset1:223
	v_mul_f64 v[13:14], v[13:14], s[4:5]
	v_and_b32_e32 v30, 7, v18
	v_cndmask_b32_e64 v11, 0, 1, s0
	v_cmp_gt_i32_e64 s0, 31, v27
	v_cmp_eq_u32_e64 s1, 3, v30
	v_and_or_b32 v11, 0xffe, v28, v11
	v_cndmask_b32_e64 v26, 0x7c00, v26, s0
	v_cmp_eq_u32_e64 s0, 0x40f, v27
	v_sub_nc_u32_e32 v28, 0x3f1, v29
	v_cndmask_b32_e64 v0, v26, v0, s0
	v_cmp_lt_i32_e64 s0, 5, v30
	v_med3_i32 v27, v28, 0, 13
	v_or_b32_e32 v26, 0x1000, v11
	v_and_or_b32 v28, 0x8000, v1, v0
	v_lshrrev_b32_e32 v0, 2, v18
	s_or_b32 s0, s1, s0
	v_lshrrev_b32_e32 v30, v27, v26
	s_waitcnt lgkmcnt(0)
	v_lshrrev_b32_e32 v18, 16, v15
	v_bfe_u32 v32, v14, 20, 11
	v_add_co_ci_u32_e64 v0, s0, 0, v0, s0
	v_cmp_ne_u32_e64 s0, 0, v9
	v_lshlrev_b32_e32 v27, v27, v30
	v_mul_f16_sdwa v1, v80, v18 dst_sel:DWORD dst_unused:UNUSED_PAD src0_sel:WORD_1 src1_sel:DWORD
	v_and_b32_e32 v28, 0xffff, v28
	v_cndmask_b32_e64 v9, 0, 1, s0
	v_cmp_gt_i32_e64 s0, 31, v19
	v_fmac_f16_e32 v1, v80, v15
	v_mul_f16_sdwa v15, v80, v15 dst_sel:DWORD dst_unused:UNUSED_PAD src0_sel:WORD_1 src1_sel:DWORD
	v_lshl_or_b32 v9, v9, 9, 0x7c00
	v_cndmask_b32_e64 v31, 0x7c00, v0, s0
	v_and_or_b32 v0, 0x1ff, v14, v13
	v_cmp_ne_u32_e64 s0, v27, v26
	v_cvt_f32_f16_e32 v1, v1
	v_add_nc_u32_e32 v26, 0xfffffc10, v29
	v_lshrrev_b32_e32 v29, 8, v14
	v_lshrrev_b32_e32 v14, 16, v14
	v_cndmask_b32_e64 v13, 0, 1, s0
	v_cmp_ne_u32_e64 s0, 0, v0
	v_cvt_f64_f32_e32 v[0:1], v1
	v_or_b32_e32 v13, v30, v13
	v_cndmask_b32_e64 v27, 0, 1, s0
	v_cmp_eq_u32_e64 s0, 0x40f, v19
	v_lshl_or_b32 v19, v26, 12, v11
	v_and_or_b32 v27, 0xffe, v29, v27
	v_cndmask_b32_e64 v9, v31, v9, s0
	v_sub_nc_u32_e32 v29, 0x3f1, v32
	v_cmp_gt_i32_e64 s0, 1, v26
	v_and_or_b32 v9, 0x8000, v10, v9
	v_med3_i32 v29, v29, 0, 13
	v_cndmask_b32_e64 v13, v19, v13, s0
	v_or_b32_e32 v19, 0x1000, v27
	v_add_co_u32 v7, s0, v7, s6
	v_add_co_ci_u32_e64 v8, s0, s7, v8, s0
	v_lshrrev_b32_e32 v10, v29, v19
	v_and_b32_e32 v30, 7, v13
	v_mul_f64 v[0:1], v[0:1], s[4:5]
	v_lshl_or_b32 v28, v9, 16, v28
	v_fma_f16 v9, v80, v18, -v15
	v_lshlrev_b32_e32 v29, v29, v10
	v_cmp_lt_i32_e64 s0, 5, v30
	v_lshrrev_b32_e32 v13, 2, v13
	global_store_dword v[7:8], v17, off
	v_cvt_f32_f16_e32 v9, v9
	v_cmp_ne_u32_e64 s1, v29, v19
	v_add_nc_u32_e32 v17, 0xfffffc10, v32
	v_cndmask_b32_e64 v15, 0, 1, s1
	v_cmp_eq_u32_e64 s1, 3, v30
	v_lshl_or_b32 v18, v17, 12, v27
	v_or_b32_e32 v15, v10, v15
	s_or_b32 s0, s1, s0
	v_cvt_f64_f32_e32 v[9:10], v9
	v_add_co_ci_u32_e64 v13, s0, 0, v13, s0
	v_cmp_ne_u32_e64 s0, 0, v11
	v_and_or_b32 v0, 0x1ff, v1, v0
	v_lshrrev_b32_e32 v19, 8, v1
	v_bfe_u32 v29, v1, 20, 11
	v_cndmask_b32_e64 v11, 0, 1, s0
	v_cmp_gt_i32_e64 s0, 1, v17
	v_lshl_or_b32 v11, v11, 9, 0x7c00
	v_cndmask_b32_e64 v15, v18, v15, s0
	v_cmp_gt_i32_e64 s0, 31, v26
	v_and_b32_e32 v18, 7, v15
	v_cndmask_b32_e64 v13, 0x7c00, v13, s0
	v_cmp_ne_u32_e64 s0, 0, v0
	v_mul_f64 v[9:10], v[9:10], s[4:5]
	v_lshrrev_b32_e32 v15, 2, v15
	v_cmp_eq_u32_e64 s1, 3, v18
	v_cndmask_b32_e64 v0, 0, 1, s0
	v_cmp_eq_u32_e64 s0, 0x40f, v26
	v_and_or_b32 v0, 0xffe, v19, v0
	v_cndmask_b32_e64 v11, v13, v11, s0
	v_cmp_lt_i32_e64 s0, 5, v18
	v_sub_nc_u32_e32 v13, 0x3f1, v29
	v_lshrrev_b32_e32 v19, 16, v16
	v_or_b32_e32 v18, 0x1000, v0
	v_and_or_b32 v31, 0x8000, v12, v11
	s_or_b32 s0, s1, s0
	v_med3_i32 v13, v13, 0, 13
	v_add_co_ci_u32_e64 v15, s0, 0, v15, s0
	v_cmp_ne_u32_e64 s0, 0, v27
	v_mul_f16_sdwa v30, v79, v19 dst_sel:DWORD dst_unused:UNUSED_PAD src0_sel:WORD_1 src1_sel:DWORD
	v_lshrrev_b32_e32 v27, v13, v18
	v_and_or_b32 v9, 0x1ff, v10, v9
	v_cndmask_b32_e64 v26, 0, 1, s0
	v_cmp_gt_i32_e64 s0, 31, v17
	v_lshlrev_b32_e32 v11, v13, v27
	v_fmac_f16_e32 v30, v79, v16
	v_mul_f16_sdwa v16, v79, v16 dst_sel:DWORD dst_unused:UNUSED_PAD src0_sel:WORD_1 src1_sel:DWORD
	v_lshl_or_b32 v26, v26, 9, 0x7c00
	v_cndmask_b32_e64 v15, 0x7c00, v15, s0
	v_cmp_eq_u32_e64 s0, 0x40f, v17
	v_cvt_f32_f16_e32 v12, v30
	v_lshrrev_b32_e32 v17, 8, v10
	v_fma_f16 v16, v79, v19, -v16
	v_cndmask_b32_e64 v13, v15, v26, s0
	v_cmp_ne_u32_e64 s0, v11, v18
	v_cvt_f64_f32_e32 v[11:12], v12
	v_bfe_u32 v18, v10, 20, 11
	v_add_nc_u32_e32 v26, 0xfffffc10, v29
	v_and_or_b32 v13, 0x8000, v14, v13
	v_cndmask_b32_e64 v15, 0, 1, s0
	v_cmp_ne_u32_e64 s0, 0, v9
	v_cvt_f32_f16_e32 v16, v16
	v_add_nc_u32_e32 v19, 0xfffffc10, v18
	v_or_b32_e32 v14, v27, v15
	v_cndmask_b32_e64 v9, 0, 1, s0
	v_lshl_or_b32 v15, v26, 12, v0
	v_cmp_gt_i32_e64 s0, 1, v26
	v_and_b32_e32 v27, 0xffff, v31
	v_and_or_b32 v9, 0xffe, v17, v9
	v_sub_nc_u32_e32 v17, 0x3f1, v18
	v_cndmask_b32_e64 v15, v15, v14, s0
	v_add_co_u32 v7, s0, v7, s6
	v_or_b32_e32 v29, 0x1000, v9
	v_med3_i32 v17, v17, 0, 13
	v_add_co_ci_u32_e64 v8, s0, s7, v8, s0
	v_and_b32_e32 v30, 7, v15
	v_mul_f64 v[11:12], v[11:12], s[4:5]
	v_lshrrev_b32_e32 v31, v17, v29
	v_lshl_or_b32 v27, v13, 16, v27
	v_add_co_u32 v13, s0, v7, s6
	v_add_co_ci_u32_e64 v14, s0, s7, v8, s0
	v_lshlrev_b32_e32 v17, v17, v31
	v_cmp_lt_i32_e64 s0, 5, v30
	v_cmp_eq_u32_e64 s1, 3, v30
	v_lshrrev_b32_e32 v15, 2, v15
	v_cmp_ne_u32_e64 s2, v17, v29
	s_or_b32 s0, s1, s0
	v_add_co_ci_u32_e64 v29, s0, 0, v15, s0
	v_cndmask_b32_e64 v17, 0, 1, s2
	v_cmp_ne_u32_e64 s0, 0, v0
	v_cvt_f64_f32_e32 v[15:16], v16
	v_and_or_b32 v11, 0x1ff, v12, v11
	v_or_b32_e32 v30, v31, v17
	v_lshl_or_b32 v31, v19, 12, v9
	v_cndmask_b32_e64 v0, 0, 1, s0
	v_cmp_gt_i32_e64 s0, 1, v19
	ds_read2_b32 v[17:18], v3 offset0:72 offset1:177
	v_lshrrev_b32_e32 v32, 8, v12
	v_bfe_u32 v33, v12, 20, 11
	v_lshl_or_b32 v0, v0, 9, 0x7c00
	v_cndmask_b32_e64 v30, v31, v30, s0
	v_cmp_gt_i32_e64 s0, 31, v26
	global_store_dword v[7:8], v28, off
	global_store_dword v[13:14], v27, off
	v_lshrrev_b32_e32 v12, 16, v12
	v_and_b32_e32 v31, 7, v30
	v_cndmask_b32_e64 v29, 0x7c00, v29, s0
	v_cmp_ne_u32_e64 s0, 0, v11
	v_cmp_eq_u32_e64 s1, 3, v31
	v_cndmask_b32_e64 v11, 0, 1, s0
	v_cmp_eq_u32_e64 s0, 0x40f, v26
	v_and_or_b32 v11, 0xffe, v32, v11
	v_cndmask_b32_e64 v26, v29, v0, s0
	v_cmp_lt_i32_e64 s0, 5, v31
	v_lshrrev_b32_e32 v29, 16, v1
	v_mul_f64 v[0:1], v[15:16], s[4:5]
	v_lshrrev_b32_e32 v16, 2, v30
	v_sub_nc_u32_e32 v32, 0x3f1, v33
	s_or_b32 s0, s1, s0
	v_or_b32_e32 v30, 0x1000, v11
	s_waitcnt lgkmcnt(0)
	v_lshrrev_b32_e32 v15, 16, v17
	v_add_co_ci_u32_e64 v16, s0, 0, v16, s0
	v_med3_i32 v31, v32, 0, 13
	v_cmp_ne_u32_e64 s0, 0, v9
	v_mul_f16_sdwa v32, v78, v15 dst_sel:DWORD dst_unused:UNUSED_PAD src0_sel:WORD_1 src1_sel:DWORD
	v_and_or_b32 v26, 0x8000, v29, v26
	v_lshrrev_b32_e32 v34, v31, v30
	v_cndmask_b32_e64 v9, 0, 1, s0
	v_cmp_gt_i32_e64 s0, 31, v19
	v_fmac_f16_e32 v32, v78, v17
	v_and_b32_e32 v26, 0xffff, v26
	v_lshlrev_b32_e32 v29, v31, v34
	v_lshl_or_b32 v9, v9, 9, 0x7c00
	v_cndmask_b32_e64 v16, 0x7c00, v16, s0
	v_cmp_eq_u32_e64 s0, 0x40f, v19
	v_and_or_b32 v0, 0x1ff, v1, v0
	v_cvt_f32_f16_e32 v31, v32
	v_lshrrev_b32_e32 v19, 16, v10
	v_bfe_u32 v32, v1, 20, 11
	v_cndmask_b32_e64 v16, v16, v9, s0
	v_cmp_ne_u32_e64 s0, v29, v30
	v_cvt_f64_f32_e32 v[9:10], v31
	v_add_nc_u32_e32 v30, 0xfffffc10, v33
	v_lshrrev_b32_e32 v31, 8, v1
	v_and_or_b32 v16, 0x8000, v19, v16
	v_cndmask_b32_e64 v29, 0, 1, s0
	v_cmp_ne_u32_e64 s0, 0, v0
	v_lshl_or_b32 v16, v16, 16, v26
	v_or_b32_e32 v19, v34, v29
	v_cndmask_b32_e64 v0, 0, 1, s0
	v_lshl_or_b32 v29, v30, 12, v11
	v_cmp_gt_i32_e64 s0, 1, v30
	v_and_or_b32 v0, 0xffe, v31, v0
	v_sub_nc_u32_e32 v31, 0x3f1, v32
	v_cndmask_b32_e64 v19, v29, v19, s0
	v_or_b32_e32 v29, 0x1000, v0
	v_med3_i32 v31, v31, 0, 13
	v_and_b32_e32 v26, 7, v19
	v_mul_f64 v[7:8], v[9:10], s[4:5]
	v_add_co_u32 v9, s0, v13, s6
	v_lshrrev_b32_e32 v27, v31, v29
	v_add_co_ci_u32_e64 v10, s0, s7, v14, s0
	v_cmp_lt_i32_e64 s0, 5, v26
	v_cmp_eq_u32_e64 s1, 3, v26
	v_lshlrev_b32_e32 v13, v31, v27
	v_mul_f16_sdwa v14, v78, v17 dst_sel:DWORD dst_unused:UNUSED_PAD src0_sel:WORD_1 src1_sel:DWORD
	v_lshrrev_b32_e32 v17, 2, v19
	global_store_dword v[9:10], v16, off
	s_or_b32 s0, s1, s0
	v_cmp_ne_u32_e64 s2, v13, v29
	v_fma_f16 v14, v78, v15, -v14
	v_add_co_ci_u32_e64 v17, s0, 0, v17, s0
	v_add_nc_u32_e32 v15, 0xfffffc10, v32
	v_cndmask_b32_e64 v13, 0, 1, s2
	v_cmp_ne_u32_e64 s0, 0, v11
	v_cvt_f32_f16_e32 v14, v14
	v_lshl_or_b32 v26, v15, 12, v0
	v_or_b32_e32 v19, v27, v13
	v_cndmask_b32_e64 v11, 0, 1, s0
	v_cmp_gt_i32_e64 s0, 1, v15
	v_cvt_f64_f32_e32 v[13:14], v14
	v_and_or_b32 v7, 0x1ff, v8, v7
	v_lshrrev_b32_e32 v27, 8, v8
	v_lshl_or_b32 v11, v11, 9, 0x7c00
	v_cndmask_b32_e64 v19, v26, v19, s0
	v_cmp_gt_i32_e64 s0, 31, v30
	v_bfe_u32 v28, v8, 20, 11
	v_and_b32_e32 v26, 7, v19
	v_cndmask_b32_e64 v17, 0x7c00, v17, s0
	v_cmp_ne_u32_e64 s0, 0, v7
	v_lshrrev_b32_e32 v19, 2, v19
	v_cmp_eq_u32_e64 s1, 3, v26
	v_cndmask_b32_e64 v7, 0, 1, s0
	v_cmp_eq_u32_e64 s0, 0x40f, v30
	v_and_or_b32 v7, 0xffe, v27, v7
	v_cndmask_b32_e64 v11, v17, v11, s0
	v_cmp_lt_i32_e64 s0, 5, v26
	v_lshrrev_b32_e32 v26, 16, v18
	v_mul_f64 v[13:14], v[13:14], s[4:5]
	v_sub_nc_u32_e32 v17, 0x3f1, v28
	v_or_b32_e32 v27, 0x1000, v7
	s_or_b32 s0, s1, s0
	v_mul_f16_sdwa v29, v77, v26 dst_sel:DWORD dst_unused:UNUSED_PAD src0_sel:WORD_1 src1_sel:DWORD
	v_add_co_ci_u32_e64 v19, s0, 0, v19, s0
	v_cmp_ne_u32_e64 s0, 0, v0
	v_med3_i32 v17, v17, 0, 13
	v_fmac_f16_e32 v29, v77, v18
	v_and_or_b32 v11, 0x8000, v12, v11
	v_mul_f16_sdwa v18, v77, v18 dst_sel:DWORD dst_unused:UNUSED_PAD src0_sel:WORD_1 src1_sel:DWORD
	v_cndmask_b32_e64 v0, 0, 1, s0
	v_cmp_gt_i32_e64 s0, 31, v15
	v_lshrrev_b32_e32 v30, v17, v27
	v_cvt_f32_f16_e32 v29, v29
	v_and_b32_e32 v11, 0xffff, v11
	v_lshl_or_b32 v0, v0, 9, 0x7c00
	v_cndmask_b32_e64 v19, 0x7c00, v19, s0
	v_cmp_eq_u32_e64 s0, 0x40f, v15
	v_lshlrev_b32_e32 v17, v17, v30
	v_and_or_b32 v13, 0x1ff, v14, v13
	v_cndmask_b32_e64 v15, v19, v0, s0
	v_lshrrev_b32_e32 v19, 16, v1
	v_cvt_f64_f32_e32 v[0:1], v29
	v_cmp_ne_u32_e64 s0, v17, v27
	v_add_nc_u32_e32 v27, 0xfffffc10, v28
	v_bfe_u32 v28, v14, 20, 11
	v_and_or_b32 v12, 0x8000, v19, v15
	v_lshrrev_b32_e32 v19, 8, v14
	v_cndmask_b32_e64 v17, 0, 1, s0
	v_cmp_ne_u32_e64 s0, 0, v13
	v_sub_nc_u32_e32 v16, 0x3f1, v28
	v_lshl_or_b32 v11, v12, 16, v11
	v_lshrrev_b32_e32 v14, 16, v14
	v_or_b32_e32 v15, v30, v17
	v_cndmask_b32_e64 v13, 0, 1, s0
	v_lshl_or_b32 v17, v27, 12, v7
	v_cmp_gt_i32_e64 s0, 1, v27
	v_med3_i32 v16, v16, 0, 13
	v_and_or_b32 v13, 0xffe, v19, v13
	v_cndmask_b32_e64 v15, v17, v15, s0
	v_add_co_u32 v9, s0, v9, s6
	v_mul_f64 v[0:1], v[0:1], s[4:5]
	v_or_b32_e32 v17, 0x1000, v13
	v_and_b32_e32 v12, 7, v15
	v_add_co_ci_u32_e64 v10, s0, s7, v10, s0
	v_lshrrev_b32_e32 v19, v16, v17
	v_cmp_lt_i32_e64 s0, 5, v12
	v_cmp_eq_u32_e64 s1, 3, v12
	global_store_dword v[9:10], v11, off
	v_lshrrev_b32_e32 v11, 2, v15
	v_lshlrev_b32_e32 v15, v16, v19
	v_fma_f16 v16, v77, v26, -v18
	s_or_b32 s0, s1, s0
	v_add_nc_u32_e32 v26, 0xfffffc10, v28
	v_add_co_ci_u32_e64 v18, s0, 0, v11, s0
	v_cmp_ne_u32_e64 s0, v15, v17
	ds_read2_b32 v[11:12], v2 offset0:26 offset1:131
	v_cvt_f32_f16_e32 v15, v16
	v_cndmask_b32_e64 v17, 0, 1, s0
	v_and_or_b32 v0, 0x1ff, v1, v0
	v_cmp_gt_i32_e64 s0, 31, v27
	v_cvt_f64_f32_e32 v[15:16], v15
	v_lshrrev_b32_e32 v28, 8, v1
	v_or_b32_e32 v17, v19, v17
	v_lshl_or_b32 v19, v26, 12, v13
	v_cndmask_b32_e64 v18, 0x7c00, v18, s0
	v_cmp_ne_u32_e64 s0, 0, v0
	v_bfe_u32 v29, v1, 20, 11
	v_cndmask_b32_e64 v0, 0, 1, s0
	v_cmp_ne_u32_e64 s0, 0, v7
	v_and_or_b32 v0, 0xffe, v28, v0
	v_cndmask_b32_e64 v7, 0, 1, s0
	v_cmp_gt_i32_e64 s0, 1, v26
	s_waitcnt lgkmcnt(0)
	v_lshrrev_b32_e32 v28, 16, v11
	v_or_b32_e32 v31, 0x1000, v0
	v_lshl_or_b32 v7, v7, 9, 0x7c00
	v_cndmask_b32_e64 v17, v19, v17, s0
	v_sub_nc_u32_e32 v19, 0x3f1, v29
	v_cmp_eq_u32_e64 s0, 0x40f, v27
	v_mul_f16_sdwa v32, v76, v28 dst_sel:DWORD dst_unused:UNUSED_PAD src0_sel:WORD_1 src1_sel:DWORD
	v_mul_f64 v[15:16], v[15:16], s[4:5]
	v_and_b32_e32 v30, 7, v17
	v_med3_i32 v19, v19, 0, 13
	v_cndmask_b32_e64 v18, v18, v7, s0
	v_lshrrev_b32_e32 v7, 2, v17
	v_fmac_f16_e32 v32, v76, v11
	v_cmp_lt_i32_e64 s0, 5, v30
	v_cmp_eq_u32_e64 s1, 3, v30
	v_lshrrev_b32_e32 v27, v19, v31
	v_lshrrev_b32_e32 v30, 16, v8
	v_cvt_f32_f16_e32 v8, v32
	v_add_nc_u32_e32 v29, 0xfffffc10, v29
	s_or_b32 s0, s1, s0
	v_lshlrev_b32_e32 v17, v19, v27
	v_add_co_ci_u32_e64 v19, s0, 0, v7, s0
	v_cmp_ne_u32_e64 s0, 0, v13
	v_cvt_f64_f32_e32 v[7:8], v8
	v_and_or_b32 v18, 0x8000, v30, v18
	v_mul_f16_sdwa v11, v76, v11 dst_sel:DWORD dst_unused:UNUSED_PAD src0_sel:WORD_1 src1_sel:DWORD
	v_lshrrev_b32_e32 v32, 16, v12
	v_cndmask_b32_e64 v13, 0, 1, s0
	v_cmp_ne_u32_e64 s0, v17, v31
	v_and_or_b32 v15, 0x1ff, v16, v15
	v_and_b32_e32 v18, 0xffff, v18
	v_fma_f16 v11, v76, v28, -v11
	v_lshl_or_b32 v13, v13, 9, 0x7c00
	v_cndmask_b32_e64 v17, 0, 1, s0
	v_cmp_gt_i32_e64 s0, 31, v26
	v_cvt_f32_f16_e32 v11, v11
	v_or_b32_e32 v17, v27, v17
	v_cndmask_b32_e64 v19, 0x7c00, v19, s0
	v_cmp_eq_u32_e64 s0, 0x40f, v26
	v_lshl_or_b32 v27, v29, 12, v0
	v_bfe_u32 v26, v16, 20, 11
	v_cndmask_b32_e64 v13, v19, v13, s0
	v_cmp_gt_i32_e64 s0, 1, v29
	v_lshrrev_b32_e32 v19, 8, v16
	v_mul_f64 v[7:8], v[7:8], s[4:5]
	v_lshrrev_b32_e32 v16, 16, v16
	v_and_or_b32 v13, 0x8000, v14, v13
	v_cndmask_b32_e64 v17, v27, v17, s0
	v_cmp_ne_u32_e64 s0, 0, v15
	v_lshl_or_b32 v18, v13, 16, v18
	v_and_b32_e32 v27, 7, v17
	v_cndmask_b32_e64 v15, 0, 1, s0
	v_lshrrev_b32_e32 v17, 2, v17
	v_cmp_lt_i32_e64 s0, 5, v27
	v_and_or_b32 v15, 0xffe, v19, v15
	v_sub_nc_u32_e32 v19, 0x3f1, v26
	v_cmp_eq_u32_e64 s1, 3, v27
	v_or_b32_e32 v14, 0x1000, v15
	v_med3_i32 v19, v19, 0, 13
	s_or_b32 s0, s1, s0
	v_and_or_b32 v7, 0x1ff, v8, v7
	v_add_co_ci_u32_e64 v17, s0, 0, v17, s0
	v_lshrrev_b32_e32 v27, v19, v14
	v_cmp_gt_i32_e64 s0, 31, v29
	v_bfe_u32 v28, v8, 20, 11
	v_lshlrev_b32_e32 v13, v19, v27
	v_cndmask_b32_e64 v17, 0x7c00, v17, s0
	v_cmp_ne_u32_e64 s0, v13, v14
	v_cvt_f64_f32_e32 v[13:14], v11
	v_add_nc_u32_e32 v11, 0xfffffc10, v26
	v_lshrrev_b32_e32 v26, 8, v8
	v_cndmask_b32_e64 v19, 0, 1, s0
	v_cmp_ne_u32_e64 s0, 0, v7
	v_or_b32_e32 v19, v27, v19
	v_cndmask_b32_e64 v7, 0, 1, s0
	v_cmp_ne_u32_e64 s0, 0, v0
	v_lshl_or_b32 v27, v11, 12, v15
	v_and_or_b32 v7, 0xffe, v26, v7
	v_cndmask_b32_e64 v0, 0, 1, s0
	v_cmp_gt_i32_e64 s0, 1, v11
	v_sub_nc_u32_e32 v26, 0x3f1, v28
	v_lshl_or_b32 v0, v0, 9, 0x7c00
	v_cndmask_b32_e64 v19, v27, v19, s0
	v_cmp_eq_u32_e64 s0, 0x40f, v29
	v_or_b32_e32 v27, 0x1000, v7
	v_med3_i32 v26, v26, 0, 13
	v_lshrrev_b32_e32 v29, 16, v1
	v_and_b32_e32 v30, 7, v19
	v_cndmask_b32_e64 v17, v17, v0, s0
	v_mul_f64 v[0:1], v[13:14], s[4:5]
	v_lshrrev_b32_e32 v31, v26, v27
	v_add_co_u32 v9, s0, v9, s6
	v_add_co_ci_u32_e64 v10, s0, s7, v10, s0
	v_lshlrev_b32_e32 v14, v26, v31
	v_mul_f16_sdwa v13, v75, v32 dst_sel:DWORD dst_unused:UNUSED_PAD src0_sel:WORD_1 src1_sel:DWORD
	v_cmp_lt_i32_e64 s0, 5, v30
	v_cmp_eq_u32_e64 s1, 3, v30
	v_lshrrev_b32_e32 v19, 2, v19
	v_cmp_ne_u32_e64 s2, v14, v27
	v_fmac_f16_e32 v13, v75, v12
	v_add_nc_u32_e32 v26, 0xfffffc10, v28
	s_or_b32 s0, s1, s0
	v_and_or_b32 v17, 0x8000, v29, v17
	v_add_co_ci_u32_e64 v19, s0, 0, v19, s0
	v_cndmask_b32_e64 v14, 0, 1, s2
	v_cmp_ne_u32_e64 s0, 0, v15
	v_cvt_f32_f16_e32 v13, v13
	v_lshl_or_b32 v28, v26, 12, v7
	v_and_or_b32 v0, 0x1ff, v1, v0
	v_or_b32_e32 v27, v31, v14
	v_cndmask_b32_e64 v15, 0, 1, s0
	v_cmp_gt_i32_e64 s0, 1, v26
	v_cvt_f64_f32_e32 v[13:14], v13
	v_bfe_u32 v29, v1, 20, 11
	v_and_b32_e32 v17, 0xffff, v17
	v_lshl_or_b32 v15, v15, 9, 0x7c00
	v_cndmask_b32_e64 v27, v28, v27, s0
	v_cmp_ne_u32_e64 s0, 0, v0
	v_lshrrev_b32_e32 v28, 8, v1
	v_mul_f16_sdwa v12, v75, v12 dst_sel:DWORD dst_unused:UNUSED_PAD src0_sel:WORD_1 src1_sel:DWORD
	v_and_b32_e32 v30, 7, v27
	v_cndmask_b32_e64 v0, 0, 1, s0
	v_cmp_gt_i32_e64 s0, 31, v11
	v_fma_f16 v12, v75, v32, -v12
	v_cmp_eq_u32_e64 s1, 3, v30
	v_and_or_b32 v0, 0xffe, v28, v0
	v_cndmask_b32_e64 v19, 0x7c00, v19, s0
	v_cmp_eq_u32_e64 s0, 0x40f, v11
	ds_read_b32 v28, v73 offset:5040
	v_cndmask_b32_e64 v11, v19, v15, s0
	v_sub_nc_u32_e32 v15, 0x3f1, v29
	v_cmp_lt_i32_e64 s0, 5, v30
	v_mul_f64 v[13:14], v[13:14], s[4:5]
	v_or_b32_e32 v19, 0x1000, v0
	v_and_or_b32 v11, 0x8000, v16, v11
	v_lshrrev_b32_e32 v16, 2, v27
	v_med3_i32 v15, v15, 0, 13
	s_or_b32 s0, s1, s0
	v_lshl_or_b32 v17, v11, 16, v17
	v_add_co_ci_u32_e64 v16, s0, 0, v16, s0
	v_lshrrev_b32_e32 v27, v15, v19
	v_cmp_ne_u32_e64 s0, 0, v7
	v_lshlrev_b32_e32 v11, v15, v27
	v_cndmask_b32_e64 v7, 0, 1, s0
	v_cmp_gt_i32_e64 s0, 31, v26
	v_lshl_or_b32 v7, v7, 9, 0x7c00
	v_cndmask_b32_e64 v15, 0x7c00, v16, s0
	v_cmp_ne_u32_e64 s0, v11, v19
	v_and_or_b32 v13, 0x1ff, v14, v13
	v_add_nc_u32_e32 v19, 0xfffffc10, v29
	v_lshrrev_b32_e32 v29, 16, v8
	v_cndmask_b32_e64 v11, 0, 1, s0
	v_cmp_eq_u32_e64 s0, 0x40f, v26
	v_lshl_or_b32 v16, v19, 12, v0
	v_lshrrev_b32_e32 v26, 8, v14
	v_cndmask_b32_e64 v15, v15, v7, s0
	v_cmp_ne_u32_e64 s0, 0, v13
	v_or_b32_e32 v7, v27, v11
	v_cvt_f32_f16_e32 v11, v12
	v_bfe_u32 v27, v14, 20, 11
	v_and_or_b32 v29, 0x8000, v29, v15
	v_cndmask_b32_e64 v13, 0, 1, s0
	v_cmp_gt_i32_e64 s0, 1, v19
	v_cvt_f64_f32_e32 v[11:12], v11
	v_lshrrev_b32_e32 v14, 16, v14
	v_and_or_b32 v13, 0xffe, v26, v13
	v_cndmask_b32_e64 v16, v16, v7, s0
	v_sub_nc_u32_e32 v7, 0x3f1, v27
	s_waitcnt lgkmcnt(0)
	v_lshrrev_b32_e32 v26, 16, v28
	v_add_nc_u32_e32 v27, 0xfffffc10, v27
	v_or_b32_e32 v31, 0x1000, v13
	v_and_b32_e32 v30, 7, v16
	v_med3_i32 v32, v7, 0, 13
	v_mul_f16_sdwa v33, v74, v26 dst_sel:DWORD dst_unused:UNUSED_PAD src0_sel:WORD_1 src1_sel:DWORD
	v_add_co_u32 v7, s0, v9, s6
	v_add_co_ci_u32_e64 v8, s0, s7, v10, s0
	v_lshrrev_b32_e32 v34, v32, v31
	v_fmac_f16_e32 v33, v74, v28
	v_cmp_lt_i32_e64 s0, 5, v30
	v_cmp_eq_u32_e64 s1, 3, v30
	v_lshrrev_b32_e32 v15, 2, v16
	v_lshlrev_b32_e32 v30, v32, v34
	v_cvt_f32_f16_e32 v16, v33
	v_mul_f64 v[11:12], v[11:12], s[4:5]
	s_or_b32 s0, s1, s0
	v_mul_f16_sdwa v28, v74, v28 dst_sel:DWORD dst_unused:UNUSED_PAD src0_sel:WORD_1 src1_sel:DWORD
	v_add_co_ci_u32_e64 v32, s0, 0, v15, s0
	v_cmp_ne_u32_e64 s0, v30, v31
	v_cvt_f64_f32_e32 v[15:16], v16
	v_lshl_or_b32 v31, v27, 12, v13
	v_fma_f16 v26, v74, v26, -v28
	v_cndmask_b32_e64 v30, 0, 1, s0
	v_cmp_ne_u32_e64 s0, 0, v0
	v_cvt_f32_f16_e32 v26, v26
	v_or_b32_e32 v30, v34, v30
	v_cndmask_b32_e64 v0, 0, 1, s0
	v_cmp_gt_i32_e64 s0, 31, v19
	v_lshl_or_b32 v0, v0, 9, 0x7c00
	v_cndmask_b32_e64 v28, 0x7c00, v32, s0
	v_cmp_gt_i32_e64 s0, 1, v27
	v_and_or_b32 v11, 0x1ff, v12, v11
	v_bfe_u32 v32, v12, 20, 11
	v_cndmask_b32_e64 v30, v31, v30, s0
	v_cmp_eq_u32_e64 s0, 0x40f, v19
	v_mul_f64 v[15:16], v[15:16], s[4:5]
	v_lshrrev_b32_e32 v31, 8, v12
	v_lshrrev_b32_e32 v12, 16, v12
	v_cndmask_b32_e64 v19, v28, v0, s0
	v_lshrrev_b32_e32 v28, 16, v1
	v_cvt_f64_f32_e32 v[0:1], v26
	v_cmp_ne_u32_e64 s0, 0, v11
	v_and_b32_e32 v26, 7, v30
	v_and_or_b32 v19, 0x8000, v28, v19
	v_and_b32_e32 v28, 0xffff, v29
	v_cndmask_b32_e64 v11, 0, 1, s0
	v_cmp_lt_i32_e64 s0, 5, v26
	v_cmp_eq_u32_e64 s1, 3, v26
	v_lshrrev_b32_e32 v26, 2, v30
	v_sub_nc_u32_e32 v29, 0x3f1, v32
	v_and_or_b32 v11, 0xffe, v31, v11
	v_lshl_or_b32 v19, v19, 16, v28
	s_or_b32 s0, s1, s0
	v_add_co_ci_u32_e64 v26, s0, 0, v26, s0
	v_or_b32_e32 v28, 0x1000, v11
	v_med3_i32 v29, v29, 0, 13
	v_cmp_ne_u32_e64 s0, 0, v13
	v_and_or_b32 v15, 0x1ff, v16, v15
	v_lshrrev_b32_e32 v31, 8, v16
	v_mul_f64 v[0:1], v[0:1], s[4:5]
	v_lshrrev_b32_e32 v30, v29, v28
	v_cndmask_b32_e64 v13, 0, 1, s0
	v_cmp_gt_i32_e64 s0, 31, v27
	v_bfe_u32 v33, v16, 20, 11
	v_lshrrev_b32_e32 v16, 16, v16
	v_lshlrev_b32_e32 v29, v29, v30
	v_lshl_or_b32 v13, v13, 9, 0x7c00
	v_cndmask_b32_e64 v26, 0x7c00, v26, s0
	v_cmp_ne_u32_e64 s0, 0, v15
	v_cndmask_b32_e64 v15, 0, 1, s0
	v_cmp_ne_u32_e64 s0, v29, v28
	v_add_nc_u32_e32 v29, 0xfffffc10, v32
	v_and_or_b32 v15, 0xffe, v31, v15
	v_cndmask_b32_e64 v28, 0, 1, s0
	v_sub_nc_u32_e32 v31, 0x3f1, v33
	v_cmp_eq_u32_e64 s0, 0x40f, v27
	v_lshl_or_b32 v27, v29, 12, v11
	v_and_or_b32 v0, 0x1ff, v1, v0
	v_bfe_u32 v32, v1, 20, 11
	v_cndmask_b32_e64 v13, v26, v13, s0
	v_or_b32_e32 v26, v30, v28
	v_or_b32_e32 v28, 0x1000, v15
	v_med3_i32 v30, v31, 0, 13
	v_cmp_gt_i32_e64 s0, 1, v29
	v_lshrrev_b32_e32 v31, 8, v1
	v_and_or_b32 v13, 0x8000, v14, v13
	v_sub_nc_u32_e32 v14, 0x3f1, v32
	v_lshrrev_b32_e32 v1, 16, v1
	v_cndmask_b32_e64 v26, v27, v26, s0
	v_lshrrev_b32_e32 v27, v30, v28
	v_cmp_ne_u32_e64 s0, 0, v0
	v_med3_i32 v14, v14, 0, 13
	v_and_b32_e32 v13, 0xffff, v13
	v_and_b32_e32 v34, 7, v26
	v_lshlrev_b32_e32 v30, v30, v27
	v_cndmask_b32_e64 v0, 0, 1, s0
	v_lshrrev_b32_e32 v26, 2, v26
	v_cmp_lt_i32_e64 s0, 5, v34
	v_cmp_ne_u32_e64 s1, v30, v28
	v_and_or_b32 v0, 0xffe, v31, v0
	v_add_nc_u32_e32 v31, 0xfffffc10, v33
	v_cndmask_b32_e64 v28, 0, 1, s1
	v_cmp_eq_u32_e64 s1, 3, v34
	v_or_b32_e32 v30, 0x1000, v0
	v_lshl_or_b32 v33, v31, 12, v15
	v_or_b32_e32 v27, v27, v28
	s_or_b32 s0, s1, s0
	v_lshrrev_b32_e32 v28, v14, v30
	v_add_co_ci_u32_e64 v26, s0, 0, v26, s0
	v_cmp_gt_i32_e64 s0, 1, v31
	v_lshlrev_b32_e32 v14, v14, v28
	v_cndmask_b32_e64 v27, v33, v27, s0
	v_cmp_ne_u32_e64 s0, 0, v11
	v_cndmask_b32_e64 v11, 0, 1, s0
	v_cmp_ne_u32_e64 s0, v14, v30
	v_add_nc_u32_e32 v30, 0xfffffc10, v32
	v_and_b32_e32 v32, 7, v27
	v_lshl_or_b32 v11, v11, 9, 0x7c00
	v_cndmask_b32_e64 v14, 0, 1, s0
	v_cmp_gt_i32_e64 s0, 31, v29
	v_cmp_gt_i32_e64 s2, 1, v30
	v_cmp_eq_u32_e64 s1, 3, v32
	v_or_b32_e32 v14, v28, v14
	v_lshl_or_b32 v28, v30, 12, v0
	v_cndmask_b32_e64 v26, 0x7c00, v26, s0
	v_cmp_lt_i32_e64 s0, 5, v32
	v_cndmask_b32_e64 v14, v28, v14, s2
	v_cmp_eq_u32_e64 s2, 0x40f, v29
	s_or_b32 s0, s1, s0
	v_cndmask_b32_e64 v11, v26, v11, s2
	v_lshrrev_b32_e32 v26, 2, v27
	v_and_b32_e32 v27, 7, v14
	v_lshrrev_b32_e32 v14, 2, v14
	v_cmp_gt_i32_e64 s2, 31, v31
	v_add_co_ci_u32_e64 v26, s0, 0, v26, s0
	v_cmp_ne_u32_e64 s0, 0, v15
	v_cmp_eq_u32_e64 s1, 3, v27
	v_cndmask_b32_e64 v26, 0x7c00, v26, s2
	v_cndmask_b32_e64 v15, 0, 1, s0
	v_cmp_lt_i32_e64 s0, 5, v27
	v_lshl_or_b32 v15, v15, 9, 0x7c00
	s_or_b32 s0, s1, s0
	v_add_co_ci_u32_e64 v14, s0, 0, v14, s0
	v_cmp_ne_u32_e64 s0, 0, v0
	v_cndmask_b32_e64 v0, 0, 1, s0
	v_cmp_eq_u32_e64 s0, 0x40f, v31
	v_lshl_or_b32 v0, v0, 9, 0x7c00
	v_cndmask_b32_e64 v15, v26, v15, s0
	v_cmp_gt_i32_e64 s0, 31, v30
	v_and_or_b32 v26, 0x8000, v12, v11
	v_and_or_b32 v15, 0x8000, v16, v15
	v_cndmask_b32_e64 v14, 0x7c00, v14, s0
	v_cmp_eq_u32_e64 s0, 0x40f, v30
	v_lshl_or_b32 v16, v26, 16, v13
	v_cndmask_b32_e64 v0, v14, v0, s0
	v_add_co_u32 v11, s0, v7, s6
	v_add_co_ci_u32_e64 v12, s0, s7, v8, s0
	v_and_or_b32 v0, 0x8000, v1, v0
	v_and_b32_e32 v1, 0xffff, v15
	v_add_co_u32 v13, s0, v11, s6
	v_add_co_ci_u32_e64 v14, s0, s7, v12, s0
	v_lshl_or_b32 v15, v0, 16, v1
	v_add_co_u32 v0, s0, v13, s6
	v_add_co_ci_u32_e64 v1, s0, s7, v14, s0
	global_store_dword v[9:10], v18, off
	global_store_dword v[7:8], v17, off
	;; [unrolled: 1-line block ×5, first 2 shown]
	s_and_b32 exec_lo, exec_lo, vcc_lo
	s_cbranch_execz .LBB0_23
; %bb.22:
	global_load_dword v7, v[24:25], off offset:364
	ds_read_b32 v8, v89 offset:364
	v_mad_u64_u32 v[0:1], null, 0xffffedbc, s8, v[0:1]
	s_waitcnt lgkmcnt(0)
	v_lshrrev_b32_e32 v9, 16, v8
	s_waitcnt vmcnt(0)
	v_mul_f16_sdwa v10, v9, v7 dst_sel:DWORD dst_unused:UNUSED_PAD src0_sel:DWORD src1_sel:WORD_1
	v_mul_f16_sdwa v11, v8, v7 dst_sel:DWORD dst_unused:UNUSED_PAD src0_sel:DWORD src1_sel:WORD_1
	v_fmac_f16_e32 v10, v8, v7
	v_fma_f16 v7, v7, v9, -v11
	v_cvt_f32_f16_e32 v8, v10
	v_cvt_f32_f16_e32 v9, v7
	v_cvt_f64_f32_e32 v[7:8], v8
	v_cvt_f64_f32_e32 v[9:10], v9
	v_mul_f64 v[7:8], v[7:8], s[4:5]
	v_mul_f64 v[9:10], v[9:10], s[4:5]
	v_and_or_b32 v7, 0x1ff, v8, v7
	v_and_or_b32 v9, 0x1ff, v10, v9
	v_lshrrev_b32_e32 v11, 8, v8
	v_bfe_u32 v12, v8, 20, 11
	v_lshrrev_b32_e32 v13, 8, v10
	v_cmp_ne_u32_e32 vcc_lo, 0, v7
	v_bfe_u32 v14, v10, 20, 11
	v_lshrrev_b32_e32 v8, 16, v8
	v_sub_nc_u32_e32 v15, 0x3f1, v12
	v_add_nc_u32_e32 v12, 0xfffffc10, v12
	v_cndmask_b32_e64 v7, 0, 1, vcc_lo
	v_cmp_ne_u32_e32 vcc_lo, 0, v9
	v_lshrrev_b32_e32 v10, 16, v10
	v_and_or_b32 v7, 0xffe, v11, v7
	v_cndmask_b32_e64 v9, 0, 1, vcc_lo
	v_sub_nc_u32_e32 v11, 0x3f1, v14
	v_add_nc_u32_e32 v14, 0xfffffc10, v14
	v_and_or_b32 v9, 0xffe, v13, v9
	v_med3_i32 v13, v15, 0, 13
	v_or_b32_e32 v15, 0x1000, v7
	v_med3_i32 v11, v11, 0, 13
	v_or_b32_e32 v16, 0x1000, v9
	v_lshrrev_b32_e32 v17, v13, v15
	v_lshrrev_b32_e32 v18, v11, v16
	v_lshlrev_b32_e32 v13, v13, v17
	v_lshlrev_b32_e32 v11, v11, v18
	v_cmp_ne_u32_e32 vcc_lo, v13, v15
	v_lshl_or_b32 v15, v12, 12, v7
	v_cndmask_b32_e64 v13, 0, 1, vcc_lo
	v_cmp_ne_u32_e32 vcc_lo, v11, v16
	v_lshl_or_b32 v16, v14, 12, v9
	v_or_b32_e32 v13, v17, v13
	v_cndmask_b32_e64 v11, 0, 1, vcc_lo
	v_cmp_gt_i32_e32 vcc_lo, 1, v12
	v_or_b32_e32 v11, v18, v11
	v_cndmask_b32_e32 v13, v15, v13, vcc_lo
	v_cmp_gt_i32_e32 vcc_lo, 1, v14
	v_and_b32_e32 v15, 7, v13
	v_cndmask_b32_e32 v11, v16, v11, vcc_lo
	v_cmp_ne_u32_e32 vcc_lo, 0, v7
	v_lshrrev_b32_e32 v13, 2, v13
	v_cmp_eq_u32_e64 s0, 3, v15
	v_and_b32_e32 v16, 7, v11
	v_cndmask_b32_e64 v7, 0, 1, vcc_lo
	v_cmp_ne_u32_e32 vcc_lo, 0, v9
	v_lshrrev_b32_e32 v11, 2, v11
	v_cmp_lt_i32_e64 s1, 5, v16
	v_cmp_eq_u32_e64 s2, 3, v16
	v_cndmask_b32_e64 v9, 0, 1, vcc_lo
	v_cmp_lt_i32_e32 vcc_lo, 5, v15
	v_lshl_or_b32 v7, v7, 9, 0x7c00
	v_lshl_or_b32 v9, v9, 9, 0x7c00
	s_or_b32 vcc_lo, s0, vcc_lo
	s_mul_i32 s0, s9, 0xffffedbc
	v_add_co_ci_u32_e32 v13, vcc_lo, 0, v13, vcc_lo
	s_or_b32 vcc_lo, s2, s1
	s_sub_i32 s0, s0, s8
	v_add_co_ci_u32_e32 v11, vcc_lo, 0, v11, vcc_lo
	v_cmp_gt_i32_e32 vcc_lo, 31, v12
	v_add_nc_u32_e32 v1, s0, v1
	v_cndmask_b32_e32 v13, 0x7c00, v13, vcc_lo
	v_cmp_gt_i32_e32 vcc_lo, 31, v14
	v_cndmask_b32_e32 v11, 0x7c00, v11, vcc_lo
	v_cmp_eq_u32_e32 vcc_lo, 0x40f, v12
	v_cndmask_b32_e32 v7, v13, v7, vcc_lo
	v_cmp_eq_u32_e32 vcc_lo, 0x40f, v14
	v_and_or_b32 v7, 0x8000, v8, v7
	v_cndmask_b32_e32 v9, v11, v9, vcc_lo
	v_and_b32_e32 v7, 0xffff, v7
	v_and_or_b32 v8, 0x8000, v10, v9
	v_lshl_or_b32 v7, v8, 16, v7
	global_store_dword v[0:1], v7, off
	global_load_dword v8, v[24:25], off offset:784
	ds_read2_b32 v[6:7], v6 offset0:68 offset1:173
	s_waitcnt lgkmcnt(0)
	v_lshrrev_b32_e32 v9, 16, v6
	s_waitcnt vmcnt(0)
	v_mul_f16_sdwa v10, v9, v8 dst_sel:DWORD dst_unused:UNUSED_PAD src0_sel:DWORD src1_sel:WORD_1
	v_mul_f16_sdwa v11, v6, v8 dst_sel:DWORD dst_unused:UNUSED_PAD src0_sel:DWORD src1_sel:WORD_1
	v_fmac_f16_e32 v10, v6, v8
	v_fma_f16 v6, v8, v9, -v11
	v_cvt_f32_f16_e32 v8, v10
	v_cvt_f32_f16_e32 v6, v6
	v_cvt_f64_f32_e32 v[8:9], v8
	v_cvt_f64_f32_e32 v[10:11], v6
	v_mul_f64 v[8:9], v[8:9], s[4:5]
	v_mul_f64 v[10:11], v[10:11], s[4:5]
	v_and_or_b32 v6, 0x1ff, v9, v8
	v_and_or_b32 v10, 0x1ff, v11, v10
	v_lshrrev_b32_e32 v8, 8, v9
	v_bfe_u32 v12, v9, 20, 11
	v_lshrrev_b32_e32 v13, 8, v11
	v_cmp_ne_u32_e32 vcc_lo, 0, v6
	v_bfe_u32 v14, v11, 20, 11
	v_lshrrev_b32_e32 v9, 16, v9
	v_sub_nc_u32_e32 v15, 0x3f1, v12
	v_add_nc_u32_e32 v12, 0xfffffc10, v12
	v_cndmask_b32_e64 v6, 0, 1, vcc_lo
	v_cmp_ne_u32_e32 vcc_lo, 0, v10
	v_lshrrev_b32_e32 v11, 16, v11
	v_and_or_b32 v6, 0xffe, v8, v6
	v_cndmask_b32_e64 v10, 0, 1, vcc_lo
	v_sub_nc_u32_e32 v8, 0x3f1, v14
	v_add_nc_u32_e32 v14, 0xfffffc10, v14
	v_and_or_b32 v10, 0xffe, v13, v10
	v_med3_i32 v13, v15, 0, 13
	v_or_b32_e32 v15, 0x1000, v6
	v_med3_i32 v8, v8, 0, 13
	v_or_b32_e32 v16, 0x1000, v10
	v_lshrrev_b32_e32 v17, v13, v15
	v_lshrrev_b32_e32 v18, v8, v16
	v_lshlrev_b32_e32 v13, v13, v17
	v_lshlrev_b32_e32 v8, v8, v18
	v_cmp_ne_u32_e32 vcc_lo, v13, v15
	v_lshl_or_b32 v15, v12, 12, v6
	v_cndmask_b32_e64 v13, 0, 1, vcc_lo
	v_cmp_ne_u32_e32 vcc_lo, v8, v16
	v_lshl_or_b32 v16, v14, 12, v10
	v_or_b32_e32 v13, v17, v13
	v_cndmask_b32_e64 v8, 0, 1, vcc_lo
	v_cmp_gt_i32_e32 vcc_lo, 1, v12
	v_or_b32_e32 v8, v18, v8
	v_cndmask_b32_e32 v13, v15, v13, vcc_lo
	v_cmp_gt_i32_e32 vcc_lo, 1, v14
	v_and_b32_e32 v15, 7, v13
	v_cndmask_b32_e32 v8, v16, v8, vcc_lo
	v_cmp_ne_u32_e32 vcc_lo, 0, v6
	v_lshrrev_b32_e32 v13, 2, v13
	v_cmp_eq_u32_e64 s0, 3, v15
	v_and_b32_e32 v16, 7, v8
	v_cndmask_b32_e64 v6, 0, 1, vcc_lo
	v_cmp_ne_u32_e32 vcc_lo, 0, v10
	v_lshrrev_b32_e32 v8, 2, v8
	v_cmp_lt_i32_e64 s1, 5, v16
	v_cmp_eq_u32_e64 s2, 3, v16
	v_cndmask_b32_e64 v10, 0, 1, vcc_lo
	v_cmp_lt_i32_e32 vcc_lo, 5, v15
	v_lshl_or_b32 v6, v6, 9, 0x7c00
	v_lshl_or_b32 v10, v10, 9, 0x7c00
	s_or_b32 vcc_lo, s0, vcc_lo
	v_add_co_ci_u32_e32 v13, vcc_lo, 0, v13, vcc_lo
	s_or_b32 vcc_lo, s2, s1
	v_add_co_ci_u32_e32 v8, vcc_lo, 0, v8, vcc_lo
	v_cmp_gt_i32_e32 vcc_lo, 31, v12
	v_cndmask_b32_e32 v13, 0x7c00, v13, vcc_lo
	v_cmp_gt_i32_e32 vcc_lo, 31, v14
	v_cndmask_b32_e32 v8, 0x7c00, v8, vcc_lo
	v_cmp_eq_u32_e32 vcc_lo, 0x40f, v12
	v_cndmask_b32_e32 v6, v13, v6, vcc_lo
	v_cmp_eq_u32_e32 vcc_lo, 0x40f, v14
	v_and_or_b32 v6, 0x8000, v9, v6
	v_cndmask_b32_e32 v8, v8, v10, vcc_lo
	v_add_co_u32 v0, vcc_lo, v0, s6
	v_add_co_ci_u32_e32 v1, vcc_lo, s7, v1, vcc_lo
	v_and_or_b32 v8, 0x8000, v11, v8
	v_and_b32_e32 v6, 0xffff, v6
	v_lshl_or_b32 v6, v8, 16, v6
	v_lshrrev_b32_e32 v8, 16, v7
	global_store_dword v[0:1], v6, off
	global_load_dword v6, v[24:25], off offset:1204
	s_waitcnt vmcnt(0)
	v_mul_f16_sdwa v9, v8, v6 dst_sel:DWORD dst_unused:UNUSED_PAD src0_sel:DWORD src1_sel:WORD_1
	v_mul_f16_sdwa v10, v7, v6 dst_sel:DWORD dst_unused:UNUSED_PAD src0_sel:DWORD src1_sel:WORD_1
	v_fmac_f16_e32 v9, v7, v6
	v_fma_f16 v6, v6, v8, -v10
	v_cvt_f32_f16_e32 v7, v9
	v_cvt_f32_f16_e32 v8, v6
	v_cvt_f64_f32_e32 v[6:7], v7
	v_cvt_f64_f32_e32 v[8:9], v8
	v_mul_f64 v[6:7], v[6:7], s[4:5]
	v_mul_f64 v[8:9], v[8:9], s[4:5]
	v_and_or_b32 v6, 0x1ff, v7, v6
	v_and_or_b32 v8, 0x1ff, v9, v8
	v_lshrrev_b32_e32 v10, 8, v7
	v_bfe_u32 v11, v7, 20, 11
	v_lshrrev_b32_e32 v12, 8, v9
	v_cmp_ne_u32_e32 vcc_lo, 0, v6
	v_bfe_u32 v13, v9, 20, 11
	v_lshrrev_b32_e32 v7, 16, v7
	v_sub_nc_u32_e32 v14, 0x3f1, v11
	v_add_nc_u32_e32 v11, 0xfffffc10, v11
	v_cndmask_b32_e64 v6, 0, 1, vcc_lo
	v_cmp_ne_u32_e32 vcc_lo, 0, v8
	v_lshrrev_b32_e32 v9, 16, v9
	v_and_or_b32 v6, 0xffe, v10, v6
	v_cndmask_b32_e64 v8, 0, 1, vcc_lo
	v_sub_nc_u32_e32 v10, 0x3f1, v13
	v_add_nc_u32_e32 v13, 0xfffffc10, v13
	v_and_or_b32 v8, 0xffe, v12, v8
	v_med3_i32 v12, v14, 0, 13
	v_or_b32_e32 v14, 0x1000, v6
	v_med3_i32 v10, v10, 0, 13
	v_or_b32_e32 v15, 0x1000, v8
	v_lshrrev_b32_e32 v16, v12, v14
	v_lshrrev_b32_e32 v17, v10, v15
	v_lshlrev_b32_e32 v12, v12, v16
	v_lshlrev_b32_e32 v10, v10, v17
	v_cmp_ne_u32_e32 vcc_lo, v12, v14
	v_lshl_or_b32 v14, v11, 12, v6
	v_cndmask_b32_e64 v12, 0, 1, vcc_lo
	v_cmp_ne_u32_e32 vcc_lo, v10, v15
	v_lshl_or_b32 v15, v13, 12, v8
	v_or_b32_e32 v12, v16, v12
	v_cndmask_b32_e64 v10, 0, 1, vcc_lo
	v_cmp_gt_i32_e32 vcc_lo, 1, v11
	v_or_b32_e32 v10, v17, v10
	v_cndmask_b32_e32 v12, v14, v12, vcc_lo
	v_cmp_gt_i32_e32 vcc_lo, 1, v13
	v_and_b32_e32 v14, 7, v12
	v_cndmask_b32_e32 v10, v15, v10, vcc_lo
	v_cmp_ne_u32_e32 vcc_lo, 0, v6
	v_lshrrev_b32_e32 v12, 2, v12
	v_cmp_eq_u32_e64 s0, 3, v14
	v_and_b32_e32 v15, 7, v10
	v_cndmask_b32_e64 v6, 0, 1, vcc_lo
	v_cmp_ne_u32_e32 vcc_lo, 0, v8
	v_lshrrev_b32_e32 v10, 2, v10
	v_cmp_lt_i32_e64 s1, 5, v15
	v_cmp_eq_u32_e64 s2, 3, v15
	v_cndmask_b32_e64 v8, 0, 1, vcc_lo
	v_cmp_lt_i32_e32 vcc_lo, 5, v14
	v_lshl_or_b32 v6, v6, 9, 0x7c00
	v_lshl_or_b32 v8, v8, 9, 0x7c00
	s_or_b32 vcc_lo, s0, vcc_lo
	v_add_co_ci_u32_e32 v12, vcc_lo, 0, v12, vcc_lo
	s_or_b32 vcc_lo, s2, s1
	v_add_co_ci_u32_e32 v10, vcc_lo, 0, v10, vcc_lo
	v_cmp_gt_i32_e32 vcc_lo, 31, v11
	v_cndmask_b32_e32 v12, 0x7c00, v12, vcc_lo
	v_cmp_gt_i32_e32 vcc_lo, 31, v13
	v_cndmask_b32_e32 v10, 0x7c00, v10, vcc_lo
	v_cmp_eq_u32_e32 vcc_lo, 0x40f, v11
	v_cndmask_b32_e32 v6, v12, v6, vcc_lo
	v_cmp_eq_u32_e32 vcc_lo, 0x40f, v13
	v_and_or_b32 v6, 0x8000, v7, v6
	v_cndmask_b32_e32 v8, v10, v8, vcc_lo
	v_add_co_u32 v0, vcc_lo, v0, s6
	v_add_co_ci_u32_e32 v1, vcc_lo, s7, v1, vcc_lo
	v_and_or_b32 v7, 0x8000, v9, v8
	v_and_b32_e32 v6, 0xffff, v6
	v_lshl_or_b32 v6, v7, 16, v6
	global_store_dword v[0:1], v6, off
	global_load_dword v7, v[24:25], off offset:1624
	ds_read2_b32 v[5:6], v5 offset0:150 offset1:255
	s_waitcnt lgkmcnt(0)
	v_lshrrev_b32_e32 v8, 16, v5
	s_waitcnt vmcnt(0)
	v_mul_f16_sdwa v9, v8, v7 dst_sel:DWORD dst_unused:UNUSED_PAD src0_sel:DWORD src1_sel:WORD_1
	v_mul_f16_sdwa v10, v5, v7 dst_sel:DWORD dst_unused:UNUSED_PAD src0_sel:DWORD src1_sel:WORD_1
	v_fmac_f16_e32 v9, v5, v7
	v_fma_f16 v5, v7, v8, -v10
	v_cvt_f32_f16_e32 v7, v9
	v_cvt_f32_f16_e32 v5, v5
	v_cvt_f64_f32_e32 v[7:8], v7
	v_cvt_f64_f32_e32 v[9:10], v5
	v_mul_f64 v[7:8], v[7:8], s[4:5]
	v_mul_f64 v[9:10], v[9:10], s[4:5]
	v_and_or_b32 v5, 0x1ff, v8, v7
	v_and_or_b32 v9, 0x1ff, v10, v9
	v_lshrrev_b32_e32 v7, 8, v8
	v_bfe_u32 v11, v8, 20, 11
	v_lshrrev_b32_e32 v12, 8, v10
	v_cmp_ne_u32_e32 vcc_lo, 0, v5
	v_bfe_u32 v13, v10, 20, 11
	v_lshrrev_b32_e32 v8, 16, v8
	v_sub_nc_u32_e32 v14, 0x3f1, v11
	v_add_nc_u32_e32 v11, 0xfffffc10, v11
	v_cndmask_b32_e64 v5, 0, 1, vcc_lo
	v_cmp_ne_u32_e32 vcc_lo, 0, v9
	v_lshrrev_b32_e32 v10, 16, v10
	v_and_or_b32 v5, 0xffe, v7, v5
	v_cndmask_b32_e64 v9, 0, 1, vcc_lo
	v_sub_nc_u32_e32 v7, 0x3f1, v13
	v_add_nc_u32_e32 v13, 0xfffffc10, v13
	v_and_or_b32 v9, 0xffe, v12, v9
	v_med3_i32 v12, v14, 0, 13
	v_or_b32_e32 v14, 0x1000, v5
	v_med3_i32 v7, v7, 0, 13
	v_or_b32_e32 v15, 0x1000, v9
	v_lshrrev_b32_e32 v16, v12, v14
	v_lshrrev_b32_e32 v17, v7, v15
	v_lshlrev_b32_e32 v12, v12, v16
	v_lshlrev_b32_e32 v7, v7, v17
	v_cmp_ne_u32_e32 vcc_lo, v12, v14
	v_lshl_or_b32 v14, v11, 12, v5
	v_cndmask_b32_e64 v12, 0, 1, vcc_lo
	v_cmp_ne_u32_e32 vcc_lo, v7, v15
	v_lshl_or_b32 v15, v13, 12, v9
	v_or_b32_e32 v12, v16, v12
	v_cndmask_b32_e64 v7, 0, 1, vcc_lo
	v_cmp_gt_i32_e32 vcc_lo, 1, v11
	v_or_b32_e32 v7, v17, v7
	v_cndmask_b32_e32 v12, v14, v12, vcc_lo
	v_cmp_gt_i32_e32 vcc_lo, 1, v13
	v_and_b32_e32 v14, 7, v12
	v_cndmask_b32_e32 v7, v15, v7, vcc_lo
	v_cmp_ne_u32_e32 vcc_lo, 0, v5
	v_lshrrev_b32_e32 v12, 2, v12
	v_cmp_eq_u32_e64 s0, 3, v14
	v_and_b32_e32 v15, 7, v7
	v_cndmask_b32_e64 v5, 0, 1, vcc_lo
	v_cmp_ne_u32_e32 vcc_lo, 0, v9
	v_lshrrev_b32_e32 v7, 2, v7
	v_cmp_lt_i32_e64 s1, 5, v15
	v_cmp_eq_u32_e64 s2, 3, v15
	v_cndmask_b32_e64 v9, 0, 1, vcc_lo
	v_cmp_lt_i32_e32 vcc_lo, 5, v14
	v_lshl_or_b32 v5, v5, 9, 0x7c00
	v_lshl_or_b32 v9, v9, 9, 0x7c00
	s_or_b32 vcc_lo, s0, vcc_lo
	v_add_co_ci_u32_e32 v12, vcc_lo, 0, v12, vcc_lo
	s_or_b32 vcc_lo, s2, s1
	v_add_co_ci_u32_e32 v7, vcc_lo, 0, v7, vcc_lo
	v_cmp_gt_i32_e32 vcc_lo, 31, v11
	v_cndmask_b32_e32 v12, 0x7c00, v12, vcc_lo
	v_cmp_gt_i32_e32 vcc_lo, 31, v13
	v_cndmask_b32_e32 v7, 0x7c00, v7, vcc_lo
	v_cmp_eq_u32_e32 vcc_lo, 0x40f, v11
	v_cndmask_b32_e32 v5, v12, v5, vcc_lo
	v_cmp_eq_u32_e32 vcc_lo, 0x40f, v13
	v_and_or_b32 v5, 0x8000, v8, v5
	v_cndmask_b32_e32 v7, v7, v9, vcc_lo
	v_add_co_u32 v0, vcc_lo, v0, s6
	v_add_co_ci_u32_e32 v1, vcc_lo, s7, v1, vcc_lo
	v_and_or_b32 v7, 0x8000, v10, v7
	v_and_b32_e32 v5, 0xffff, v5
	v_lshl_or_b32 v5, v7, 16, v5
	v_lshrrev_b32_e32 v7, 16, v6
	global_store_dword v[0:1], v5, off
	global_load_dword v5, v[24:25], off offset:2044
	s_waitcnt vmcnt(0)
	v_mul_f16_sdwa v8, v7, v5 dst_sel:DWORD dst_unused:UNUSED_PAD src0_sel:DWORD src1_sel:WORD_1
	v_mul_f16_sdwa v9, v6, v5 dst_sel:DWORD dst_unused:UNUSED_PAD src0_sel:DWORD src1_sel:WORD_1
	v_fmac_f16_e32 v8, v6, v5
	v_fma_f16 v5, v5, v7, -v9
	v_cvt_f32_f16_e32 v6, v8
	v_cvt_f32_f16_e32 v7, v5
	v_cvt_f64_f32_e32 v[5:6], v6
	v_cvt_f64_f32_e32 v[7:8], v7
	v_mul_f64 v[5:6], v[5:6], s[4:5]
	v_mul_f64 v[7:8], v[7:8], s[4:5]
	v_and_or_b32 v5, 0x1ff, v6, v5
	v_and_or_b32 v7, 0x1ff, v8, v7
	v_lshrrev_b32_e32 v9, 8, v6
	v_bfe_u32 v10, v6, 20, 11
	v_lshrrev_b32_e32 v11, 8, v8
	v_cmp_ne_u32_e32 vcc_lo, 0, v5
	v_bfe_u32 v12, v8, 20, 11
	v_lshrrev_b32_e32 v6, 16, v6
	v_sub_nc_u32_e32 v13, 0x3f1, v10
	v_add_nc_u32_e32 v10, 0xfffffc10, v10
	v_cndmask_b32_e64 v5, 0, 1, vcc_lo
	v_cmp_ne_u32_e32 vcc_lo, 0, v7
	v_lshrrev_b32_e32 v8, 16, v8
	v_and_or_b32 v5, 0xffe, v9, v5
	v_cndmask_b32_e64 v7, 0, 1, vcc_lo
	v_sub_nc_u32_e32 v9, 0x3f1, v12
	v_add_nc_u32_e32 v12, 0xfffffc10, v12
	v_and_or_b32 v7, 0xffe, v11, v7
	v_med3_i32 v11, v13, 0, 13
	v_or_b32_e32 v13, 0x1000, v5
	v_med3_i32 v9, v9, 0, 13
	v_or_b32_e32 v14, 0x1000, v7
	v_lshrrev_b32_e32 v15, v11, v13
	v_lshrrev_b32_e32 v16, v9, v14
	v_lshlrev_b32_e32 v11, v11, v15
	v_lshlrev_b32_e32 v9, v9, v16
	v_cmp_ne_u32_e32 vcc_lo, v11, v13
	v_lshl_or_b32 v13, v10, 12, v5
	v_cndmask_b32_e64 v11, 0, 1, vcc_lo
	v_cmp_ne_u32_e32 vcc_lo, v9, v14
	v_lshl_or_b32 v14, v12, 12, v7
	v_or_b32_e32 v11, v15, v11
	v_cndmask_b32_e64 v9, 0, 1, vcc_lo
	v_cmp_gt_i32_e32 vcc_lo, 1, v10
	v_or_b32_e32 v9, v16, v9
	v_cndmask_b32_e32 v11, v13, v11, vcc_lo
	v_cmp_gt_i32_e32 vcc_lo, 1, v12
	v_and_b32_e32 v13, 7, v11
	v_cndmask_b32_e32 v9, v14, v9, vcc_lo
	v_cmp_ne_u32_e32 vcc_lo, 0, v5
	v_lshrrev_b32_e32 v11, 2, v11
	v_cmp_eq_u32_e64 s0, 3, v13
	v_and_b32_e32 v14, 7, v9
	v_cndmask_b32_e64 v5, 0, 1, vcc_lo
	v_cmp_ne_u32_e32 vcc_lo, 0, v7
	v_lshrrev_b32_e32 v9, 2, v9
	v_cmp_lt_i32_e64 s1, 5, v14
	v_cmp_eq_u32_e64 s2, 3, v14
	v_cndmask_b32_e64 v7, 0, 1, vcc_lo
	v_cmp_lt_i32_e32 vcc_lo, 5, v13
	v_lshl_or_b32 v5, v5, 9, 0x7c00
	v_lshl_or_b32 v7, v7, 9, 0x7c00
	s_or_b32 vcc_lo, s0, vcc_lo
	v_add_co_ci_u32_e32 v11, vcc_lo, 0, v11, vcc_lo
	s_or_b32 vcc_lo, s2, s1
	v_add_co_ci_u32_e32 v9, vcc_lo, 0, v9, vcc_lo
	v_cmp_gt_i32_e32 vcc_lo, 31, v10
	v_cndmask_b32_e32 v11, 0x7c00, v11, vcc_lo
	v_cmp_gt_i32_e32 vcc_lo, 31, v12
	v_cndmask_b32_e32 v9, 0x7c00, v9, vcc_lo
	v_cmp_eq_u32_e32 vcc_lo, 0x40f, v10
	v_cndmask_b32_e32 v5, v11, v5, vcc_lo
	v_cmp_eq_u32_e32 vcc_lo, 0x40f, v12
	v_and_or_b32 v5, 0x8000, v6, v5
	v_cndmask_b32_e32 v7, v9, v7, vcc_lo
	v_add_co_u32 v0, vcc_lo, v0, s6
	v_add_co_ci_u32_e32 v1, vcc_lo, s7, v1, vcc_lo
	v_and_or_b32 v6, 0x8000, v8, v7
	v_and_b32_e32 v5, 0xffff, v5
	v_lshl_or_b32 v5, v6, 16, v5
	global_store_dword v[0:1], v5, off
	global_load_dword v6, v[22:23], off offset:416
	ds_read2_b32 v[4:5], v4 offset0:104 offset1:209
	s_waitcnt lgkmcnt(0)
	v_lshrrev_b32_e32 v7, 16, v4
	s_waitcnt vmcnt(0)
	v_mul_f16_sdwa v8, v7, v6 dst_sel:DWORD dst_unused:UNUSED_PAD src0_sel:DWORD src1_sel:WORD_1
	v_mul_f16_sdwa v9, v4, v6 dst_sel:DWORD dst_unused:UNUSED_PAD src0_sel:DWORD src1_sel:WORD_1
	v_fmac_f16_e32 v8, v4, v6
	v_fma_f16 v4, v6, v7, -v9
	v_cvt_f32_f16_e32 v6, v8
	v_cvt_f32_f16_e32 v4, v4
	v_cvt_f64_f32_e32 v[6:7], v6
	v_cvt_f64_f32_e32 v[8:9], v4
	v_mul_f64 v[6:7], v[6:7], s[4:5]
	v_mul_f64 v[8:9], v[8:9], s[4:5]
	v_and_or_b32 v4, 0x1ff, v7, v6
	v_and_or_b32 v8, 0x1ff, v9, v8
	v_lshrrev_b32_e32 v6, 8, v7
	v_bfe_u32 v10, v7, 20, 11
	v_lshrrev_b32_e32 v11, 8, v9
	v_cmp_ne_u32_e32 vcc_lo, 0, v4
	v_bfe_u32 v12, v9, 20, 11
	v_lshrrev_b32_e32 v7, 16, v7
	v_sub_nc_u32_e32 v13, 0x3f1, v10
	v_add_nc_u32_e32 v10, 0xfffffc10, v10
	v_cndmask_b32_e64 v4, 0, 1, vcc_lo
	v_cmp_ne_u32_e32 vcc_lo, 0, v8
	v_lshrrev_b32_e32 v9, 16, v9
	v_and_or_b32 v4, 0xffe, v6, v4
	v_cndmask_b32_e64 v8, 0, 1, vcc_lo
	v_sub_nc_u32_e32 v6, 0x3f1, v12
	v_add_nc_u32_e32 v12, 0xfffffc10, v12
	v_and_or_b32 v8, 0xffe, v11, v8
	v_med3_i32 v11, v13, 0, 13
	v_or_b32_e32 v13, 0x1000, v4
	v_med3_i32 v6, v6, 0, 13
	v_or_b32_e32 v14, 0x1000, v8
	v_lshrrev_b32_e32 v15, v11, v13
	v_lshrrev_b32_e32 v16, v6, v14
	v_lshlrev_b32_e32 v11, v11, v15
	v_lshlrev_b32_e32 v6, v6, v16
	v_cmp_ne_u32_e32 vcc_lo, v11, v13
	v_lshl_or_b32 v13, v10, 12, v4
	v_cndmask_b32_e64 v11, 0, 1, vcc_lo
	v_cmp_ne_u32_e32 vcc_lo, v6, v14
	v_lshl_or_b32 v14, v12, 12, v8
	v_or_b32_e32 v11, v15, v11
	v_cndmask_b32_e64 v6, 0, 1, vcc_lo
	v_cmp_gt_i32_e32 vcc_lo, 1, v10
	v_or_b32_e32 v6, v16, v6
	v_cndmask_b32_e32 v11, v13, v11, vcc_lo
	v_cmp_gt_i32_e32 vcc_lo, 1, v12
	v_and_b32_e32 v13, 7, v11
	v_cndmask_b32_e32 v6, v14, v6, vcc_lo
	v_cmp_ne_u32_e32 vcc_lo, 0, v4
	v_lshrrev_b32_e32 v11, 2, v11
	v_cmp_eq_u32_e64 s0, 3, v13
	v_and_b32_e32 v14, 7, v6
	v_cndmask_b32_e64 v4, 0, 1, vcc_lo
	v_cmp_ne_u32_e32 vcc_lo, 0, v8
	v_lshrrev_b32_e32 v6, 2, v6
	v_cmp_lt_i32_e64 s1, 5, v14
	v_cmp_eq_u32_e64 s2, 3, v14
	v_cndmask_b32_e64 v8, 0, 1, vcc_lo
	v_cmp_lt_i32_e32 vcc_lo, 5, v13
	v_lshl_or_b32 v4, v4, 9, 0x7c00
	v_lshl_or_b32 v8, v8, 9, 0x7c00
	s_or_b32 vcc_lo, s0, vcc_lo
	v_add_co_ci_u32_e32 v11, vcc_lo, 0, v11, vcc_lo
	s_or_b32 vcc_lo, s2, s1
	v_add_co_ci_u32_e32 v6, vcc_lo, 0, v6, vcc_lo
	v_cmp_gt_i32_e32 vcc_lo, 31, v10
	v_cndmask_b32_e32 v11, 0x7c00, v11, vcc_lo
	v_cmp_gt_i32_e32 vcc_lo, 31, v12
	v_cndmask_b32_e32 v6, 0x7c00, v6, vcc_lo
	v_cmp_eq_u32_e32 vcc_lo, 0x40f, v10
	v_cndmask_b32_e32 v4, v11, v4, vcc_lo
	v_cmp_eq_u32_e32 vcc_lo, 0x40f, v12
	v_and_or_b32 v4, 0x8000, v7, v4
	v_cndmask_b32_e32 v6, v6, v8, vcc_lo
	v_add_co_u32 v0, vcc_lo, v0, s6
	v_add_co_ci_u32_e32 v1, vcc_lo, s7, v1, vcc_lo
	v_and_or_b32 v6, 0x8000, v9, v6
	v_and_b32_e32 v4, 0xffff, v4
	v_lshl_or_b32 v4, v6, 16, v4
	v_lshrrev_b32_e32 v6, 16, v5
	global_store_dword v[0:1], v4, off
	global_load_dword v4, v[22:23], off offset:836
	s_waitcnt vmcnt(0)
	v_mul_f16_sdwa v7, v6, v4 dst_sel:DWORD dst_unused:UNUSED_PAD src0_sel:DWORD src1_sel:WORD_1
	v_mul_f16_sdwa v8, v5, v4 dst_sel:DWORD dst_unused:UNUSED_PAD src0_sel:DWORD src1_sel:WORD_1
	v_fmac_f16_e32 v7, v5, v4
	v_fma_f16 v4, v4, v6, -v8
	v_cvt_f32_f16_e32 v5, v7
	v_cvt_f32_f16_e32 v6, v4
	v_cvt_f64_f32_e32 v[4:5], v5
	v_cvt_f64_f32_e32 v[6:7], v6
	v_mul_f64 v[4:5], v[4:5], s[4:5]
	v_mul_f64 v[6:7], v[6:7], s[4:5]
	v_and_or_b32 v4, 0x1ff, v5, v4
	v_and_or_b32 v6, 0x1ff, v7, v6
	v_lshrrev_b32_e32 v8, 8, v5
	v_bfe_u32 v9, v5, 20, 11
	v_lshrrev_b32_e32 v10, 8, v7
	v_cmp_ne_u32_e32 vcc_lo, 0, v4
	v_bfe_u32 v11, v7, 20, 11
	v_lshrrev_b32_e32 v5, 16, v5
	v_sub_nc_u32_e32 v12, 0x3f1, v9
	v_add_nc_u32_e32 v9, 0xfffffc10, v9
	v_cndmask_b32_e64 v4, 0, 1, vcc_lo
	v_cmp_ne_u32_e32 vcc_lo, 0, v6
	v_lshrrev_b32_e32 v7, 16, v7
	v_and_or_b32 v4, 0xffe, v8, v4
	v_cndmask_b32_e64 v6, 0, 1, vcc_lo
	v_sub_nc_u32_e32 v8, 0x3f1, v11
	v_add_nc_u32_e32 v11, 0xfffffc10, v11
	v_and_or_b32 v6, 0xffe, v10, v6
	v_med3_i32 v10, v12, 0, 13
	v_or_b32_e32 v12, 0x1000, v4
	v_med3_i32 v8, v8, 0, 13
	v_or_b32_e32 v13, 0x1000, v6
	v_lshrrev_b32_e32 v14, v10, v12
	v_lshrrev_b32_e32 v15, v8, v13
	v_lshlrev_b32_e32 v10, v10, v14
	v_lshlrev_b32_e32 v8, v8, v15
	v_cmp_ne_u32_e32 vcc_lo, v10, v12
	v_lshl_or_b32 v12, v9, 12, v4
	v_cndmask_b32_e64 v10, 0, 1, vcc_lo
	v_cmp_ne_u32_e32 vcc_lo, v8, v13
	v_lshl_or_b32 v13, v11, 12, v6
	v_or_b32_e32 v10, v14, v10
	v_cndmask_b32_e64 v8, 0, 1, vcc_lo
	v_cmp_gt_i32_e32 vcc_lo, 1, v9
	v_or_b32_e32 v8, v15, v8
	v_cndmask_b32_e32 v10, v12, v10, vcc_lo
	v_cmp_gt_i32_e32 vcc_lo, 1, v11
	v_and_b32_e32 v12, 7, v10
	v_cndmask_b32_e32 v8, v13, v8, vcc_lo
	v_cmp_ne_u32_e32 vcc_lo, 0, v4
	v_lshrrev_b32_e32 v10, 2, v10
	v_cmp_eq_u32_e64 s0, 3, v12
	v_and_b32_e32 v13, 7, v8
	v_cndmask_b32_e64 v4, 0, 1, vcc_lo
	v_cmp_ne_u32_e32 vcc_lo, 0, v6
	v_lshrrev_b32_e32 v8, 2, v8
	v_cmp_lt_i32_e64 s1, 5, v13
	v_cmp_eq_u32_e64 s2, 3, v13
	v_cndmask_b32_e64 v6, 0, 1, vcc_lo
	v_cmp_lt_i32_e32 vcc_lo, 5, v12
	v_lshl_or_b32 v4, v4, 9, 0x7c00
	v_lshl_or_b32 v6, v6, 9, 0x7c00
	s_or_b32 vcc_lo, s0, vcc_lo
	v_add_co_ci_u32_e32 v10, vcc_lo, 0, v10, vcc_lo
	s_or_b32 vcc_lo, s2, s1
	v_add_co_ci_u32_e32 v8, vcc_lo, 0, v8, vcc_lo
	v_cmp_gt_i32_e32 vcc_lo, 31, v9
	v_cndmask_b32_e32 v10, 0x7c00, v10, vcc_lo
	v_cmp_gt_i32_e32 vcc_lo, 31, v11
	v_cndmask_b32_e32 v8, 0x7c00, v8, vcc_lo
	v_cmp_eq_u32_e32 vcc_lo, 0x40f, v9
	v_cndmask_b32_e32 v4, v10, v4, vcc_lo
	v_cmp_eq_u32_e32 vcc_lo, 0x40f, v11
	v_and_or_b32 v4, 0x8000, v5, v4
	v_cndmask_b32_e32 v6, v8, v6, vcc_lo
	v_add_co_u32 v0, vcc_lo, v0, s6
	v_add_co_ci_u32_e32 v1, vcc_lo, s7, v1, vcc_lo
	v_and_or_b32 v5, 0x8000, v7, v6
	v_and_b32_e32 v4, 0xffff, v4
	v_lshl_or_b32 v4, v5, 16, v4
	global_store_dword v[0:1], v4, off
	global_load_dword v5, v[22:23], off offset:1256
	ds_read2_b32 v[3:4], v3 offset0:58 offset1:163
	s_waitcnt lgkmcnt(0)
	v_lshrrev_b32_e32 v6, 16, v3
	s_waitcnt vmcnt(0)
	v_mul_f16_sdwa v7, v6, v5 dst_sel:DWORD dst_unused:UNUSED_PAD src0_sel:DWORD src1_sel:WORD_1
	v_mul_f16_sdwa v8, v3, v5 dst_sel:DWORD dst_unused:UNUSED_PAD src0_sel:DWORD src1_sel:WORD_1
	v_fmac_f16_e32 v7, v3, v5
	v_fma_f16 v3, v5, v6, -v8
	v_cvt_f32_f16_e32 v5, v7
	v_cvt_f32_f16_e32 v3, v3
	v_cvt_f64_f32_e32 v[5:6], v5
	v_cvt_f64_f32_e32 v[7:8], v3
	v_mul_f64 v[5:6], v[5:6], s[4:5]
	v_mul_f64 v[7:8], v[7:8], s[4:5]
	v_and_or_b32 v3, 0x1ff, v6, v5
	v_and_or_b32 v7, 0x1ff, v8, v7
	v_lshrrev_b32_e32 v5, 8, v6
	v_bfe_u32 v9, v6, 20, 11
	v_lshrrev_b32_e32 v10, 8, v8
	v_cmp_ne_u32_e32 vcc_lo, 0, v3
	v_bfe_u32 v11, v8, 20, 11
	v_lshrrev_b32_e32 v6, 16, v6
	v_sub_nc_u32_e32 v12, 0x3f1, v9
	v_add_nc_u32_e32 v9, 0xfffffc10, v9
	v_cndmask_b32_e64 v3, 0, 1, vcc_lo
	v_cmp_ne_u32_e32 vcc_lo, 0, v7
	v_lshrrev_b32_e32 v8, 16, v8
	v_and_or_b32 v3, 0xffe, v5, v3
	v_cndmask_b32_e64 v7, 0, 1, vcc_lo
	v_sub_nc_u32_e32 v5, 0x3f1, v11
	v_add_nc_u32_e32 v11, 0xfffffc10, v11
	v_and_or_b32 v7, 0xffe, v10, v7
	v_med3_i32 v10, v12, 0, 13
	v_or_b32_e32 v12, 0x1000, v3
	v_med3_i32 v5, v5, 0, 13
	v_or_b32_e32 v13, 0x1000, v7
	v_lshrrev_b32_e32 v14, v10, v12
	v_lshrrev_b32_e32 v15, v5, v13
	v_lshlrev_b32_e32 v10, v10, v14
	v_lshlrev_b32_e32 v5, v5, v15
	v_cmp_ne_u32_e32 vcc_lo, v10, v12
	v_lshl_or_b32 v12, v9, 12, v3
	v_cndmask_b32_e64 v10, 0, 1, vcc_lo
	v_cmp_ne_u32_e32 vcc_lo, v5, v13
	v_lshl_or_b32 v13, v11, 12, v7
	v_or_b32_e32 v10, v14, v10
	v_cndmask_b32_e64 v5, 0, 1, vcc_lo
	v_cmp_gt_i32_e32 vcc_lo, 1, v9
	v_or_b32_e32 v5, v15, v5
	v_cndmask_b32_e32 v10, v12, v10, vcc_lo
	v_cmp_gt_i32_e32 vcc_lo, 1, v11
	v_and_b32_e32 v12, 7, v10
	v_cndmask_b32_e32 v5, v13, v5, vcc_lo
	v_cmp_ne_u32_e32 vcc_lo, 0, v3
	v_lshrrev_b32_e32 v10, 2, v10
	v_cmp_eq_u32_e64 s0, 3, v12
	v_and_b32_e32 v13, 7, v5
	v_cndmask_b32_e64 v3, 0, 1, vcc_lo
	v_cmp_ne_u32_e32 vcc_lo, 0, v7
	v_lshrrev_b32_e32 v5, 2, v5
	v_cmp_lt_i32_e64 s1, 5, v13
	v_cmp_eq_u32_e64 s2, 3, v13
	v_cndmask_b32_e64 v7, 0, 1, vcc_lo
	v_cmp_lt_i32_e32 vcc_lo, 5, v12
	v_lshl_or_b32 v3, v3, 9, 0x7c00
	v_lshl_or_b32 v7, v7, 9, 0x7c00
	s_or_b32 vcc_lo, s0, vcc_lo
	v_add_co_ci_u32_e32 v10, vcc_lo, 0, v10, vcc_lo
	s_or_b32 vcc_lo, s2, s1
	v_add_co_ci_u32_e32 v5, vcc_lo, 0, v5, vcc_lo
	v_cmp_gt_i32_e32 vcc_lo, 31, v9
	v_cndmask_b32_e32 v10, 0x7c00, v10, vcc_lo
	v_cmp_gt_i32_e32 vcc_lo, 31, v11
	v_cndmask_b32_e32 v5, 0x7c00, v5, vcc_lo
	v_cmp_eq_u32_e32 vcc_lo, 0x40f, v9
	v_cndmask_b32_e32 v3, v10, v3, vcc_lo
	v_cmp_eq_u32_e32 vcc_lo, 0x40f, v11
	v_and_or_b32 v3, 0x8000, v6, v3
	v_cndmask_b32_e32 v5, v5, v7, vcc_lo
	v_add_co_u32 v0, vcc_lo, v0, s6
	v_add_co_ci_u32_e32 v1, vcc_lo, s7, v1, vcc_lo
	v_and_or_b32 v5, 0x8000, v8, v5
	v_and_b32_e32 v3, 0xffff, v3
	v_lshl_or_b32 v3, v5, 16, v3
	v_lshrrev_b32_e32 v5, 16, v4
	global_store_dword v[0:1], v3, off
	global_load_dword v3, v[22:23], off offset:1676
	s_waitcnt vmcnt(0)
	v_mul_f16_sdwa v6, v5, v3 dst_sel:DWORD dst_unused:UNUSED_PAD src0_sel:DWORD src1_sel:WORD_1
	v_mul_f16_sdwa v7, v4, v3 dst_sel:DWORD dst_unused:UNUSED_PAD src0_sel:DWORD src1_sel:WORD_1
	v_fmac_f16_e32 v6, v4, v3
	v_fma_f16 v3, v3, v5, -v7
	v_cvt_f32_f16_e32 v4, v6
	v_cvt_f32_f16_e32 v5, v3
	v_cvt_f64_f32_e32 v[3:4], v4
	v_cvt_f64_f32_e32 v[5:6], v5
	v_mul_f64 v[3:4], v[3:4], s[4:5]
	v_mul_f64 v[5:6], v[5:6], s[4:5]
	v_and_or_b32 v3, 0x1ff, v4, v3
	v_and_or_b32 v5, 0x1ff, v6, v5
	v_lshrrev_b32_e32 v7, 8, v4
	v_bfe_u32 v8, v4, 20, 11
	v_lshrrev_b32_e32 v9, 8, v6
	v_cmp_ne_u32_e32 vcc_lo, 0, v3
	v_bfe_u32 v10, v6, 20, 11
	v_lshrrev_b32_e32 v4, 16, v4
	v_sub_nc_u32_e32 v11, 0x3f1, v8
	v_add_nc_u32_e32 v8, 0xfffffc10, v8
	v_cndmask_b32_e64 v3, 0, 1, vcc_lo
	v_cmp_ne_u32_e32 vcc_lo, 0, v5
	v_lshrrev_b32_e32 v6, 16, v6
	v_and_or_b32 v3, 0xffe, v7, v3
	v_cndmask_b32_e64 v5, 0, 1, vcc_lo
	v_sub_nc_u32_e32 v7, 0x3f1, v10
	v_add_nc_u32_e32 v10, 0xfffffc10, v10
	v_and_or_b32 v5, 0xffe, v9, v5
	v_med3_i32 v9, v11, 0, 13
	v_or_b32_e32 v11, 0x1000, v3
	v_med3_i32 v7, v7, 0, 13
	v_or_b32_e32 v12, 0x1000, v5
	v_lshrrev_b32_e32 v13, v9, v11
	v_lshrrev_b32_e32 v14, v7, v12
	v_lshlrev_b32_e32 v9, v9, v13
	v_lshlrev_b32_e32 v7, v7, v14
	v_cmp_ne_u32_e32 vcc_lo, v9, v11
	v_lshl_or_b32 v11, v8, 12, v3
	v_cndmask_b32_e64 v9, 0, 1, vcc_lo
	v_cmp_ne_u32_e32 vcc_lo, v7, v12
	v_lshl_or_b32 v12, v10, 12, v5
	v_or_b32_e32 v9, v13, v9
	v_cndmask_b32_e64 v7, 0, 1, vcc_lo
	v_cmp_gt_i32_e32 vcc_lo, 1, v8
	v_or_b32_e32 v7, v14, v7
	v_cndmask_b32_e32 v9, v11, v9, vcc_lo
	v_cmp_gt_i32_e32 vcc_lo, 1, v10
	v_and_b32_e32 v11, 7, v9
	v_cndmask_b32_e32 v7, v12, v7, vcc_lo
	v_cmp_ne_u32_e32 vcc_lo, 0, v3
	v_lshrrev_b32_e32 v9, 2, v9
	v_cmp_eq_u32_e64 s0, 3, v11
	v_and_b32_e32 v12, 7, v7
	v_cndmask_b32_e64 v3, 0, 1, vcc_lo
	v_cmp_ne_u32_e32 vcc_lo, 0, v5
	v_lshrrev_b32_e32 v7, 2, v7
	v_cmp_lt_i32_e64 s1, 5, v12
	v_cmp_eq_u32_e64 s2, 3, v12
	v_cndmask_b32_e64 v5, 0, 1, vcc_lo
	v_cmp_lt_i32_e32 vcc_lo, 5, v11
	v_lshl_or_b32 v3, v3, 9, 0x7c00
	v_lshl_or_b32 v5, v5, 9, 0x7c00
	s_or_b32 vcc_lo, s0, vcc_lo
	v_add_co_ci_u32_e32 v9, vcc_lo, 0, v9, vcc_lo
	s_or_b32 vcc_lo, s2, s1
	v_add_co_ci_u32_e32 v7, vcc_lo, 0, v7, vcc_lo
	v_cmp_gt_i32_e32 vcc_lo, 31, v8
	v_cndmask_b32_e32 v9, 0x7c00, v9, vcc_lo
	v_cmp_gt_i32_e32 vcc_lo, 31, v10
	v_cndmask_b32_e32 v7, 0x7c00, v7, vcc_lo
	v_cmp_eq_u32_e32 vcc_lo, 0x40f, v8
	v_cndmask_b32_e32 v3, v9, v3, vcc_lo
	v_cmp_eq_u32_e32 vcc_lo, 0x40f, v10
	v_and_or_b32 v3, 0x8000, v4, v3
	v_cndmask_b32_e32 v5, v7, v5, vcc_lo
	v_add_co_u32 v0, vcc_lo, v0, s6
	v_add_co_ci_u32_e32 v1, vcc_lo, s7, v1, vcc_lo
	v_and_or_b32 v4, 0x8000, v6, v5
	v_and_b32_e32 v3, 0xffff, v3
	v_lshl_or_b32 v3, v4, 16, v3
	global_store_dword v[0:1], v3, off
	global_load_dword v4, v[20:21], off offset:48
	ds_read2_b32 v[2:3], v2 offset0:12 offset1:117
	s_waitcnt lgkmcnt(0)
	v_lshrrev_b32_e32 v5, 16, v2
	s_waitcnt vmcnt(0)
	v_mul_f16_sdwa v6, v5, v4 dst_sel:DWORD dst_unused:UNUSED_PAD src0_sel:DWORD src1_sel:WORD_1
	v_mul_f16_sdwa v7, v2, v4 dst_sel:DWORD dst_unused:UNUSED_PAD src0_sel:DWORD src1_sel:WORD_1
	v_fmac_f16_e32 v6, v2, v4
	v_fma_f16 v2, v4, v5, -v7
	v_cvt_f32_f16_e32 v4, v6
	v_cvt_f32_f16_e32 v2, v2
	v_cvt_f64_f32_e32 v[4:5], v4
	v_cvt_f64_f32_e32 v[6:7], v2
	v_mul_f64 v[4:5], v[4:5], s[4:5]
	v_mul_f64 v[6:7], v[6:7], s[4:5]
	v_and_or_b32 v2, 0x1ff, v5, v4
	v_and_or_b32 v6, 0x1ff, v7, v6
	v_lshrrev_b32_e32 v4, 8, v5
	v_bfe_u32 v8, v5, 20, 11
	v_lshrrev_b32_e32 v9, 8, v7
	v_cmp_ne_u32_e32 vcc_lo, 0, v2
	v_bfe_u32 v10, v7, 20, 11
	v_lshrrev_b32_e32 v5, 16, v5
	v_sub_nc_u32_e32 v11, 0x3f1, v8
	v_add_nc_u32_e32 v8, 0xfffffc10, v8
	v_cndmask_b32_e64 v2, 0, 1, vcc_lo
	v_cmp_ne_u32_e32 vcc_lo, 0, v6
	v_lshrrev_b32_e32 v7, 16, v7
	v_and_or_b32 v2, 0xffe, v4, v2
	v_cndmask_b32_e64 v6, 0, 1, vcc_lo
	v_sub_nc_u32_e32 v4, 0x3f1, v10
	v_add_nc_u32_e32 v10, 0xfffffc10, v10
	v_and_or_b32 v6, 0xffe, v9, v6
	v_med3_i32 v9, v11, 0, 13
	v_or_b32_e32 v11, 0x1000, v2
	v_med3_i32 v4, v4, 0, 13
	v_or_b32_e32 v12, 0x1000, v6
	v_lshrrev_b32_e32 v13, v9, v11
	v_lshrrev_b32_e32 v14, v4, v12
	v_lshlrev_b32_e32 v9, v9, v13
	v_lshlrev_b32_e32 v4, v4, v14
	v_cmp_ne_u32_e32 vcc_lo, v9, v11
	v_lshl_or_b32 v11, v8, 12, v2
	v_cndmask_b32_e64 v9, 0, 1, vcc_lo
	v_cmp_ne_u32_e32 vcc_lo, v4, v12
	v_lshl_or_b32 v12, v10, 12, v6
	v_or_b32_e32 v9, v13, v9
	v_cndmask_b32_e64 v4, 0, 1, vcc_lo
	v_cmp_gt_i32_e32 vcc_lo, 1, v8
	v_or_b32_e32 v4, v14, v4
	v_cndmask_b32_e32 v9, v11, v9, vcc_lo
	v_cmp_gt_i32_e32 vcc_lo, 1, v10
	v_and_b32_e32 v11, 7, v9
	v_cndmask_b32_e32 v4, v12, v4, vcc_lo
	v_cmp_ne_u32_e32 vcc_lo, 0, v2
	v_lshrrev_b32_e32 v9, 2, v9
	v_cmp_eq_u32_e64 s0, 3, v11
	v_and_b32_e32 v12, 7, v4
	v_cndmask_b32_e64 v2, 0, 1, vcc_lo
	v_cmp_ne_u32_e32 vcc_lo, 0, v6
	v_lshrrev_b32_e32 v4, 2, v4
	v_cmp_lt_i32_e64 s1, 5, v12
	v_cmp_eq_u32_e64 s2, 3, v12
	v_cndmask_b32_e64 v6, 0, 1, vcc_lo
	v_cmp_lt_i32_e32 vcc_lo, 5, v11
	v_lshl_or_b32 v2, v2, 9, 0x7c00
	v_lshl_or_b32 v6, v6, 9, 0x7c00
	s_or_b32 vcc_lo, s0, vcc_lo
	v_add_co_ci_u32_e32 v9, vcc_lo, 0, v9, vcc_lo
	s_or_b32 vcc_lo, s2, s1
	v_add_co_ci_u32_e32 v4, vcc_lo, 0, v4, vcc_lo
	v_cmp_gt_i32_e32 vcc_lo, 31, v8
	v_cndmask_b32_e32 v9, 0x7c00, v9, vcc_lo
	v_cmp_gt_i32_e32 vcc_lo, 31, v10
	v_cndmask_b32_e32 v4, 0x7c00, v4, vcc_lo
	v_cmp_eq_u32_e32 vcc_lo, 0x40f, v8
	v_cndmask_b32_e32 v2, v9, v2, vcc_lo
	v_cmp_eq_u32_e32 vcc_lo, 0x40f, v10
	v_and_or_b32 v2, 0x8000, v5, v2
	v_cndmask_b32_e32 v4, v4, v6, vcc_lo
	v_add_co_u32 v0, vcc_lo, v0, s6
	v_add_co_ci_u32_e32 v1, vcc_lo, s7, v1, vcc_lo
	v_and_or_b32 v4, 0x8000, v7, v4
	v_and_b32_e32 v2, 0xffff, v2
	v_lshl_or_b32 v2, v4, 16, v2
	v_lshrrev_b32_e32 v4, 16, v3
	global_store_dword v[0:1], v2, off
	global_load_dword v2, v[20:21], off offset:468
	s_waitcnt vmcnt(0)
	v_mul_f16_sdwa v5, v4, v2 dst_sel:DWORD dst_unused:UNUSED_PAD src0_sel:DWORD src1_sel:WORD_1
	v_mul_f16_sdwa v6, v3, v2 dst_sel:DWORD dst_unused:UNUSED_PAD src0_sel:DWORD src1_sel:WORD_1
	v_fmac_f16_e32 v5, v3, v2
	v_fma_f16 v2, v2, v4, -v6
	v_cvt_f32_f16_e32 v3, v5
	v_cvt_f32_f16_e32 v4, v2
	v_cvt_f64_f32_e32 v[2:3], v3
	v_cvt_f64_f32_e32 v[4:5], v4
	v_mul_f64 v[2:3], v[2:3], s[4:5]
	v_mul_f64 v[4:5], v[4:5], s[4:5]
	v_and_or_b32 v2, 0x1ff, v3, v2
	v_and_or_b32 v4, 0x1ff, v5, v4
	v_lshrrev_b32_e32 v6, 8, v3
	v_bfe_u32 v7, v3, 20, 11
	v_lshrrev_b32_e32 v8, 8, v5
	v_cmp_ne_u32_e32 vcc_lo, 0, v2
	v_bfe_u32 v9, v5, 20, 11
	v_lshrrev_b32_e32 v3, 16, v3
	v_sub_nc_u32_e32 v10, 0x3f1, v7
	v_add_nc_u32_e32 v7, 0xfffffc10, v7
	v_cndmask_b32_e64 v2, 0, 1, vcc_lo
	v_cmp_ne_u32_e32 vcc_lo, 0, v4
	v_lshrrev_b32_e32 v5, 16, v5
	v_and_or_b32 v2, 0xffe, v6, v2
	v_cndmask_b32_e64 v4, 0, 1, vcc_lo
	v_sub_nc_u32_e32 v6, 0x3f1, v9
	v_add_nc_u32_e32 v9, 0xfffffc10, v9
	v_and_or_b32 v4, 0xffe, v8, v4
	v_med3_i32 v8, v10, 0, 13
	v_or_b32_e32 v10, 0x1000, v2
	v_med3_i32 v6, v6, 0, 13
	v_or_b32_e32 v11, 0x1000, v4
	v_lshrrev_b32_e32 v12, v8, v10
	v_lshrrev_b32_e32 v13, v6, v11
	v_lshlrev_b32_e32 v8, v8, v12
	v_lshlrev_b32_e32 v6, v6, v13
	v_cmp_ne_u32_e32 vcc_lo, v8, v10
	v_lshl_or_b32 v10, v7, 12, v2
	v_cndmask_b32_e64 v8, 0, 1, vcc_lo
	v_cmp_ne_u32_e32 vcc_lo, v6, v11
	v_lshl_or_b32 v11, v9, 12, v4
	v_or_b32_e32 v8, v12, v8
	v_cndmask_b32_e64 v6, 0, 1, vcc_lo
	v_cmp_gt_i32_e32 vcc_lo, 1, v7
	v_or_b32_e32 v6, v13, v6
	v_cndmask_b32_e32 v8, v10, v8, vcc_lo
	v_cmp_gt_i32_e32 vcc_lo, 1, v9
	v_and_b32_e32 v10, 7, v8
	v_cndmask_b32_e32 v6, v11, v6, vcc_lo
	v_cmp_ne_u32_e32 vcc_lo, 0, v2
	v_lshrrev_b32_e32 v8, 2, v8
	v_cmp_eq_u32_e64 s0, 3, v10
	v_and_b32_e32 v11, 7, v6
	v_cndmask_b32_e64 v2, 0, 1, vcc_lo
	v_cmp_ne_u32_e32 vcc_lo, 0, v4
	v_lshrrev_b32_e32 v6, 2, v6
	v_cmp_lt_i32_e64 s1, 5, v11
	v_cmp_eq_u32_e64 s2, 3, v11
	v_cndmask_b32_e64 v4, 0, 1, vcc_lo
	v_cmp_lt_i32_e32 vcc_lo, 5, v10
	v_lshl_or_b32 v2, v2, 9, 0x7c00
	v_lshl_or_b32 v4, v4, 9, 0x7c00
	s_or_b32 vcc_lo, s0, vcc_lo
	v_add_co_ci_u32_e32 v8, vcc_lo, 0, v8, vcc_lo
	s_or_b32 vcc_lo, s2, s1
	v_add_co_ci_u32_e32 v6, vcc_lo, 0, v6, vcc_lo
	v_cmp_gt_i32_e32 vcc_lo, 31, v7
	v_cndmask_b32_e32 v8, 0x7c00, v8, vcc_lo
	v_cmp_gt_i32_e32 vcc_lo, 31, v9
	v_cndmask_b32_e32 v6, 0x7c00, v6, vcc_lo
	v_cmp_eq_u32_e32 vcc_lo, 0x40f, v7
	v_cndmask_b32_e32 v2, v8, v2, vcc_lo
	v_cmp_eq_u32_e32 vcc_lo, 0x40f, v9
	v_and_or_b32 v2, 0x8000, v3, v2
	v_cndmask_b32_e32 v4, v6, v4, vcc_lo
	v_add_co_u32 v0, vcc_lo, v0, s6
	v_add_co_ci_u32_e32 v1, vcc_lo, s7, v1, vcc_lo
	v_and_or_b32 v3, 0x8000, v5, v4
	v_and_b32_e32 v2, 0xffff, v2
	v_lshl_or_b32 v2, v3, 16, v2
	global_store_dword v[0:1], v2, off
	global_load_dword v4, v[20:21], off offset:888
	v_add_nc_u32_e32 v2, 0x1200, v73
	ds_read2_b32 v[2:3], v2 offset0:94 offset1:199
	s_waitcnt lgkmcnt(0)
	v_lshrrev_b32_e32 v5, 16, v2
	s_waitcnt vmcnt(0)
	v_mul_f16_sdwa v6, v5, v4 dst_sel:DWORD dst_unused:UNUSED_PAD src0_sel:DWORD src1_sel:WORD_1
	v_mul_f16_sdwa v7, v2, v4 dst_sel:DWORD dst_unused:UNUSED_PAD src0_sel:DWORD src1_sel:WORD_1
	v_fmac_f16_e32 v6, v2, v4
	v_fma_f16 v2, v4, v5, -v7
	v_cvt_f32_f16_e32 v4, v6
	v_cvt_f32_f16_e32 v2, v2
	v_cvt_f64_f32_e32 v[4:5], v4
	v_cvt_f64_f32_e32 v[6:7], v2
	v_mul_f64 v[4:5], v[4:5], s[4:5]
	v_mul_f64 v[6:7], v[6:7], s[4:5]
	v_and_or_b32 v2, 0x1ff, v5, v4
	v_and_or_b32 v6, 0x1ff, v7, v6
	v_lshrrev_b32_e32 v4, 8, v5
	v_bfe_u32 v8, v5, 20, 11
	v_lshrrev_b32_e32 v9, 8, v7
	v_cmp_ne_u32_e32 vcc_lo, 0, v2
	v_bfe_u32 v10, v7, 20, 11
	v_lshrrev_b32_e32 v5, 16, v5
	v_sub_nc_u32_e32 v11, 0x3f1, v8
	v_add_nc_u32_e32 v8, 0xfffffc10, v8
	v_cndmask_b32_e64 v2, 0, 1, vcc_lo
	v_cmp_ne_u32_e32 vcc_lo, 0, v6
	v_lshrrev_b32_e32 v7, 16, v7
	v_and_or_b32 v2, 0xffe, v4, v2
	v_cndmask_b32_e64 v6, 0, 1, vcc_lo
	v_sub_nc_u32_e32 v4, 0x3f1, v10
	v_add_nc_u32_e32 v10, 0xfffffc10, v10
	v_and_or_b32 v6, 0xffe, v9, v6
	v_med3_i32 v9, v11, 0, 13
	v_or_b32_e32 v11, 0x1000, v2
	v_med3_i32 v4, v4, 0, 13
	v_or_b32_e32 v12, 0x1000, v6
	v_lshrrev_b32_e32 v13, v9, v11
	v_lshrrev_b32_e32 v14, v4, v12
	v_lshlrev_b32_e32 v9, v9, v13
	v_lshlrev_b32_e32 v4, v4, v14
	v_cmp_ne_u32_e32 vcc_lo, v9, v11
	v_lshl_or_b32 v11, v8, 12, v2
	v_cndmask_b32_e64 v9, 0, 1, vcc_lo
	v_cmp_ne_u32_e32 vcc_lo, v4, v12
	v_lshl_or_b32 v12, v10, 12, v6
	v_or_b32_e32 v9, v13, v9
	v_cndmask_b32_e64 v4, 0, 1, vcc_lo
	v_cmp_gt_i32_e32 vcc_lo, 1, v8
	v_or_b32_e32 v4, v14, v4
	v_cndmask_b32_e32 v9, v11, v9, vcc_lo
	v_cmp_gt_i32_e32 vcc_lo, 1, v10
	v_and_b32_e32 v11, 7, v9
	v_cndmask_b32_e32 v4, v12, v4, vcc_lo
	v_cmp_ne_u32_e32 vcc_lo, 0, v2
	v_lshrrev_b32_e32 v9, 2, v9
	v_cmp_eq_u32_e64 s0, 3, v11
	v_and_b32_e32 v12, 7, v4
	v_cndmask_b32_e64 v2, 0, 1, vcc_lo
	v_cmp_ne_u32_e32 vcc_lo, 0, v6
	v_lshrrev_b32_e32 v4, 2, v4
	v_cmp_lt_i32_e64 s1, 5, v12
	v_cmp_eq_u32_e64 s2, 3, v12
	v_cndmask_b32_e64 v6, 0, 1, vcc_lo
	v_cmp_lt_i32_e32 vcc_lo, 5, v11
	v_lshl_or_b32 v2, v2, 9, 0x7c00
	v_lshl_or_b32 v6, v6, 9, 0x7c00
	s_or_b32 vcc_lo, s0, vcc_lo
	v_add_co_ci_u32_e32 v9, vcc_lo, 0, v9, vcc_lo
	s_or_b32 vcc_lo, s2, s1
	v_add_co_ci_u32_e32 v4, vcc_lo, 0, v4, vcc_lo
	v_cmp_gt_i32_e32 vcc_lo, 31, v8
	v_cndmask_b32_e32 v9, 0x7c00, v9, vcc_lo
	v_cmp_gt_i32_e32 vcc_lo, 31, v10
	v_cndmask_b32_e32 v4, 0x7c00, v4, vcc_lo
	v_cmp_eq_u32_e32 vcc_lo, 0x40f, v8
	v_cndmask_b32_e32 v2, v9, v2, vcc_lo
	v_cmp_eq_u32_e32 vcc_lo, 0x40f, v10
	v_and_or_b32 v2, 0x8000, v5, v2
	v_cndmask_b32_e32 v4, v4, v6, vcc_lo
	v_add_co_u32 v0, vcc_lo, v0, s6
	v_add_co_ci_u32_e32 v1, vcc_lo, s7, v1, vcc_lo
	v_and_or_b32 v4, 0x8000, v7, v4
	v_and_b32_e32 v2, 0xffff, v2
	v_lshl_or_b32 v2, v4, 16, v2
	v_lshrrev_b32_e32 v4, 16, v3
	global_store_dword v[0:1], v2, off
	global_load_dword v2, v[20:21], off offset:1308
	s_waitcnt vmcnt(0)
	v_mul_f16_sdwa v5, v4, v2 dst_sel:DWORD dst_unused:UNUSED_PAD src0_sel:DWORD src1_sel:WORD_1
	v_mul_f16_sdwa v6, v3, v2 dst_sel:DWORD dst_unused:UNUSED_PAD src0_sel:DWORD src1_sel:WORD_1
	v_fmac_f16_e32 v5, v3, v2
	v_fma_f16 v2, v2, v4, -v6
	v_cvt_f32_f16_e32 v3, v5
	v_cvt_f32_f16_e32 v4, v2
	v_cvt_f64_f32_e32 v[2:3], v3
	v_cvt_f64_f32_e32 v[4:5], v4
	v_mul_f64 v[2:3], v[2:3], s[4:5]
	v_mul_f64 v[4:5], v[4:5], s[4:5]
	v_and_or_b32 v2, 0x1ff, v3, v2
	v_and_or_b32 v4, 0x1ff, v5, v4
	v_lshrrev_b32_e32 v6, 8, v3
	v_bfe_u32 v7, v3, 20, 11
	v_lshrrev_b32_e32 v8, 8, v5
	v_cmp_ne_u32_e32 vcc_lo, 0, v2
	v_bfe_u32 v9, v5, 20, 11
	v_lshrrev_b32_e32 v3, 16, v3
	v_sub_nc_u32_e32 v10, 0x3f1, v7
	v_add_nc_u32_e32 v7, 0xfffffc10, v7
	v_cndmask_b32_e64 v2, 0, 1, vcc_lo
	v_cmp_ne_u32_e32 vcc_lo, 0, v4
	v_lshrrev_b32_e32 v5, 16, v5
	v_and_or_b32 v2, 0xffe, v6, v2
	v_cndmask_b32_e64 v4, 0, 1, vcc_lo
	v_sub_nc_u32_e32 v6, 0x3f1, v9
	v_add_nc_u32_e32 v9, 0xfffffc10, v9
	v_and_or_b32 v4, 0xffe, v8, v4
	v_med3_i32 v8, v10, 0, 13
	v_or_b32_e32 v10, 0x1000, v2
	v_med3_i32 v6, v6, 0, 13
	v_or_b32_e32 v11, 0x1000, v4
	v_lshrrev_b32_e32 v12, v8, v10
	v_lshrrev_b32_e32 v13, v6, v11
	v_lshlrev_b32_e32 v8, v8, v12
	v_lshlrev_b32_e32 v6, v6, v13
	v_cmp_ne_u32_e32 vcc_lo, v8, v10
	v_lshl_or_b32 v10, v7, 12, v2
	v_cndmask_b32_e64 v8, 0, 1, vcc_lo
	v_cmp_ne_u32_e32 vcc_lo, v6, v11
	v_lshl_or_b32 v11, v9, 12, v4
	v_or_b32_e32 v8, v12, v8
	v_cndmask_b32_e64 v6, 0, 1, vcc_lo
	v_cmp_gt_i32_e32 vcc_lo, 1, v7
	v_or_b32_e32 v6, v13, v6
	v_cndmask_b32_e32 v8, v10, v8, vcc_lo
	v_cmp_gt_i32_e32 vcc_lo, 1, v9
	v_and_b32_e32 v10, 7, v8
	v_cndmask_b32_e32 v6, v11, v6, vcc_lo
	v_cmp_ne_u32_e32 vcc_lo, 0, v2
	v_lshrrev_b32_e32 v8, 2, v8
	v_cmp_eq_u32_e64 s0, 3, v10
	v_and_b32_e32 v11, 7, v6
	v_cndmask_b32_e64 v2, 0, 1, vcc_lo
	v_cmp_ne_u32_e32 vcc_lo, 0, v4
	v_lshrrev_b32_e32 v6, 2, v6
	v_cmp_lt_i32_e64 s1, 5, v11
	v_cmp_eq_u32_e64 s2, 3, v11
	v_cndmask_b32_e64 v4, 0, 1, vcc_lo
	v_cmp_lt_i32_e32 vcc_lo, 5, v10
	v_lshl_or_b32 v2, v2, 9, 0x7c00
	v_lshl_or_b32 v4, v4, 9, 0x7c00
	s_or_b32 vcc_lo, s0, vcc_lo
	v_add_co_ci_u32_e32 v8, vcc_lo, 0, v8, vcc_lo
	s_or_b32 vcc_lo, s2, s1
	v_add_co_ci_u32_e32 v6, vcc_lo, 0, v6, vcc_lo
	v_cmp_gt_i32_e32 vcc_lo, 31, v7
	v_cndmask_b32_e32 v8, 0x7c00, v8, vcc_lo
	v_cmp_gt_i32_e32 vcc_lo, 31, v9
	v_cndmask_b32_e32 v6, 0x7c00, v6, vcc_lo
	v_cmp_eq_u32_e32 vcc_lo, 0x40f, v7
	v_cndmask_b32_e32 v2, v8, v2, vcc_lo
	v_cmp_eq_u32_e32 vcc_lo, 0x40f, v9
	v_and_or_b32 v2, 0x8000, v3, v2
	v_cndmask_b32_e32 v4, v6, v4, vcc_lo
	v_add_co_u32 v0, vcc_lo, v0, s6
	v_add_co_ci_u32_e32 v1, vcc_lo, s7, v1, vcc_lo
	v_and_or_b32 v3, 0x8000, v5, v4
	v_and_b32_e32 v2, 0xffff, v2
	v_lshl_or_b32 v2, v3, 16, v2
	global_store_dword v[0:1], v2, off
.LBB0_23:
	s_endpgm
	.section	.rodata,"a",@progbits
	.p2align	6, 0x0
	.amdhsa_kernel bluestein_single_back_len1365_dim1_half_op_CI_CI
		.amdhsa_group_segment_fixed_size 10920
		.amdhsa_private_segment_fixed_size 0
		.amdhsa_kernarg_size 104
		.amdhsa_user_sgpr_count 6
		.amdhsa_user_sgpr_private_segment_buffer 1
		.amdhsa_user_sgpr_dispatch_ptr 0
		.amdhsa_user_sgpr_queue_ptr 0
		.amdhsa_user_sgpr_kernarg_segment_ptr 1
		.amdhsa_user_sgpr_dispatch_id 0
		.amdhsa_user_sgpr_flat_scratch_init 0
		.amdhsa_user_sgpr_private_segment_size 0
		.amdhsa_wavefront_size32 1
		.amdhsa_uses_dynamic_stack 0
		.amdhsa_system_sgpr_private_segment_wavefront_offset 0
		.amdhsa_system_sgpr_workgroup_id_x 1
		.amdhsa_system_sgpr_workgroup_id_y 0
		.amdhsa_system_sgpr_workgroup_id_z 0
		.amdhsa_system_sgpr_workgroup_info 0
		.amdhsa_system_vgpr_workitem_id 0
		.amdhsa_next_free_vgpr 235
		.amdhsa_next_free_sgpr 16
		.amdhsa_reserve_vcc 1
		.amdhsa_reserve_flat_scratch 0
		.amdhsa_float_round_mode_32 0
		.amdhsa_float_round_mode_16_64 0
		.amdhsa_float_denorm_mode_32 3
		.amdhsa_float_denorm_mode_16_64 3
		.amdhsa_dx10_clamp 1
		.amdhsa_ieee_mode 1
		.amdhsa_fp16_overflow 0
		.amdhsa_workgroup_processor_mode 1
		.amdhsa_memory_ordered 1
		.amdhsa_forward_progress 0
		.amdhsa_shared_vgpr_count 0
		.amdhsa_exception_fp_ieee_invalid_op 0
		.amdhsa_exception_fp_denorm_src 0
		.amdhsa_exception_fp_ieee_div_zero 0
		.amdhsa_exception_fp_ieee_overflow 0
		.amdhsa_exception_fp_ieee_underflow 0
		.amdhsa_exception_fp_ieee_inexact 0
		.amdhsa_exception_int_div_zero 0
	.end_amdhsa_kernel
	.text
.Lfunc_end0:
	.size	bluestein_single_back_len1365_dim1_half_op_CI_CI, .Lfunc_end0-bluestein_single_back_len1365_dim1_half_op_CI_CI
                                        ; -- End function
	.section	.AMDGPU.csdata,"",@progbits
; Kernel info:
; codeLenInByte = 43540
; NumSgprs: 18
; NumVgprs: 235
; ScratchSize: 0
; MemoryBound: 0
; FloatMode: 240
; IeeeMode: 1
; LDSByteSize: 10920 bytes/workgroup (compile time only)
; SGPRBlocks: 2
; VGPRBlocks: 29
; NumSGPRsForWavesPerEU: 18
; NumVGPRsForWavesPerEU: 235
; Occupancy: 4
; WaveLimiterHint : 1
; COMPUTE_PGM_RSRC2:SCRATCH_EN: 0
; COMPUTE_PGM_RSRC2:USER_SGPR: 6
; COMPUTE_PGM_RSRC2:TRAP_HANDLER: 0
; COMPUTE_PGM_RSRC2:TGID_X_EN: 1
; COMPUTE_PGM_RSRC2:TGID_Y_EN: 0
; COMPUTE_PGM_RSRC2:TGID_Z_EN: 0
; COMPUTE_PGM_RSRC2:TIDIG_COMP_CNT: 0
	.text
	.p2alignl 6, 3214868480
	.fill 48, 4, 3214868480
	.type	__hip_cuid_a85d9640c463644d,@object ; @__hip_cuid_a85d9640c463644d
	.section	.bss,"aw",@nobits
	.globl	__hip_cuid_a85d9640c463644d
__hip_cuid_a85d9640c463644d:
	.byte	0                               ; 0x0
	.size	__hip_cuid_a85d9640c463644d, 1

	.ident	"AMD clang version 19.0.0git (https://github.com/RadeonOpenCompute/llvm-project roc-6.4.0 25133 c7fe45cf4b819c5991fe208aaa96edf142730f1d)"
	.section	".note.GNU-stack","",@progbits
	.addrsig
	.addrsig_sym __hip_cuid_a85d9640c463644d
	.amdgpu_metadata
---
amdhsa.kernels:
  - .args:
      - .actual_access:  read_only
        .address_space:  global
        .offset:         0
        .size:           8
        .value_kind:     global_buffer
      - .actual_access:  read_only
        .address_space:  global
        .offset:         8
        .size:           8
        .value_kind:     global_buffer
      - .actual_access:  read_only
        .address_space:  global
        .offset:         16
        .size:           8
        .value_kind:     global_buffer
      - .actual_access:  read_only
        .address_space:  global
        .offset:         24
        .size:           8
        .value_kind:     global_buffer
      - .actual_access:  read_only
        .address_space:  global
        .offset:         32
        .size:           8
        .value_kind:     global_buffer
      - .offset:         40
        .size:           8
        .value_kind:     by_value
      - .address_space:  global
        .offset:         48
        .size:           8
        .value_kind:     global_buffer
      - .address_space:  global
        .offset:         56
        .size:           8
        .value_kind:     global_buffer
      - .address_space:  global
        .offset:         64
        .size:           8
        .value_kind:     global_buffer
      - .address_space:  global
        .offset:         72
        .size:           8
        .value_kind:     global_buffer
      - .offset:         80
        .size:           4
        .value_kind:     by_value
      - .address_space:  global
        .offset:         88
        .size:           8
        .value_kind:     global_buffer
      - .address_space:  global
        .offset:         96
        .size:           8
        .value_kind:     global_buffer
    .group_segment_fixed_size: 10920
    .kernarg_segment_align: 8
    .kernarg_segment_size: 104
    .language:       OpenCL C
    .language_version:
      - 2
      - 0
    .max_flat_workgroup_size: 182
    .name:           bluestein_single_back_len1365_dim1_half_op_CI_CI
    .private_segment_fixed_size: 0
    .sgpr_count:     18
    .sgpr_spill_count: 0
    .symbol:         bluestein_single_back_len1365_dim1_half_op_CI_CI.kd
    .uniform_work_group_size: 1
    .uses_dynamic_stack: false
    .vgpr_count:     235
    .vgpr_spill_count: 0
    .wavefront_size: 32
    .workgroup_processor_mode: 1
amdhsa.target:   amdgcn-amd-amdhsa--gfx1030
amdhsa.version:
  - 1
  - 2
...

	.end_amdgpu_metadata
